;; amdgpu-corpus repo=ROCm/rocFFT kind=compiled arch=gfx1100 opt=O3
	.text
	.amdgcn_target "amdgcn-amd-amdhsa--gfx1100"
	.amdhsa_code_object_version 6
	.protected	fft_rtc_fwd_len325_factors_13_5_5_wgs_52_tpt_13_dp_op_CI_CI_sbrr_dirReg ; -- Begin function fft_rtc_fwd_len325_factors_13_5_5_wgs_52_tpt_13_dp_op_CI_CI_sbrr_dirReg
	.globl	fft_rtc_fwd_len325_factors_13_5_5_wgs_52_tpt_13_dp_op_CI_CI_sbrr_dirReg
	.p2align	8
	.type	fft_rtc_fwd_len325_factors_13_5_5_wgs_52_tpt_13_dp_op_CI_CI_sbrr_dirReg,@function
fft_rtc_fwd_len325_factors_13_5_5_wgs_52_tpt_13_dp_op_CI_CI_sbrr_dirReg: ; @fft_rtc_fwd_len325_factors_13_5_5_wgs_52_tpt_13_dp_op_CI_CI_sbrr_dirReg
; %bb.0:
	s_clause 0x2
	s_load_b128 s[16:19], s[0:1], 0x18
	s_load_b128 s[8:11], s[0:1], 0x0
	;; [unrolled: 1-line block ×3, first 2 shown]
	v_mul_u32_u24_e32 v1, 0x13b2, v0
	v_mov_b32_e32 v3, 0
	s_waitcnt lgkmcnt(0)
	s_load_b64 s[20:21], s[16:17], 0x0
	s_load_b64 s[12:13], s[18:19], 0x0
	v_lshrrev_b32_e32 v7, 16, v1
	v_cmp_lt_u64_e64 s2, s[10:11], 2
	v_mov_b32_e32 v1, 0
	v_mov_b32_e32 v2, 0
	;; [unrolled: 1-line block ×3, first 2 shown]
	v_lshl_add_u32 v5, s15, 2, v7
	s_and_b32 vcc_lo, exec_lo, s2
	s_cbranch_vccnz .LBB0_8
; %bb.1:
	s_load_b64 s[2:3], s[0:1], 0x10
	v_mov_b32_e32 v1, 0
	v_mov_b32_e32 v2, 0
	s_add_u32 s14, s18, 8
	s_addc_u32 s15, s19, 0
	s_add_u32 s22, s16, 8
	s_addc_u32 s23, s17, 0
	v_dual_mov_b32 v77, v2 :: v_dual_mov_b32 v76, v1
	s_mov_b64 s[26:27], 1
	s_waitcnt lgkmcnt(0)
	s_add_u32 s24, s2, 8
	s_addc_u32 s25, s3, 0
.LBB0_2:                                ; =>This Inner Loop Header: Depth=1
	s_load_b64 s[28:29], s[24:25], 0x0
                                        ; implicit-def: $vgpr78_vgpr79
	s_mov_b32 s2, exec_lo
	s_waitcnt lgkmcnt(0)
	v_or_b32_e32 v4, s29, v6
	s_delay_alu instid0(VALU_DEP_1)
	v_cmpx_ne_u64_e32 0, v[3:4]
	s_xor_b32 s3, exec_lo, s2
	s_cbranch_execz .LBB0_4
; %bb.3:                                ;   in Loop: Header=BB0_2 Depth=1
	v_cvt_f32_u32_e32 v4, s28
	v_cvt_f32_u32_e32 v8, s29
	s_sub_u32 s2, 0, s28
	s_subb_u32 s30, 0, s29
	s_delay_alu instid0(VALU_DEP_1) | instskip(NEXT) | instid1(VALU_DEP_1)
	v_fmac_f32_e32 v4, 0x4f800000, v8
	v_rcp_f32_e32 v4, v4
	s_waitcnt_depctr 0xfff
	v_mul_f32_e32 v4, 0x5f7ffffc, v4
	s_delay_alu instid0(VALU_DEP_1) | instskip(NEXT) | instid1(VALU_DEP_1)
	v_mul_f32_e32 v8, 0x2f800000, v4
	v_trunc_f32_e32 v8, v8
	s_delay_alu instid0(VALU_DEP_1) | instskip(SKIP_1) | instid1(VALU_DEP_2)
	v_fmac_f32_e32 v4, 0xcf800000, v8
	v_cvt_u32_f32_e32 v8, v8
	v_cvt_u32_f32_e32 v4, v4
	s_delay_alu instid0(VALU_DEP_2) | instskip(NEXT) | instid1(VALU_DEP_2)
	v_mul_lo_u32 v9, s2, v8
	v_mul_hi_u32 v10, s2, v4
	v_mul_lo_u32 v11, s30, v4
	s_delay_alu instid0(VALU_DEP_2) | instskip(SKIP_1) | instid1(VALU_DEP_2)
	v_add_nc_u32_e32 v9, v10, v9
	v_mul_lo_u32 v10, s2, v4
	v_add_nc_u32_e32 v9, v9, v11
	s_delay_alu instid0(VALU_DEP_2) | instskip(NEXT) | instid1(VALU_DEP_2)
	v_mul_hi_u32 v11, v4, v10
	v_mul_lo_u32 v12, v4, v9
	v_mul_hi_u32 v13, v4, v9
	v_mul_hi_u32 v14, v8, v10
	v_mul_lo_u32 v10, v8, v10
	v_mul_hi_u32 v15, v8, v9
	v_mul_lo_u32 v9, v8, v9
	v_add_co_u32 v11, vcc_lo, v11, v12
	v_add_co_ci_u32_e32 v12, vcc_lo, 0, v13, vcc_lo
	s_delay_alu instid0(VALU_DEP_2) | instskip(NEXT) | instid1(VALU_DEP_2)
	v_add_co_u32 v10, vcc_lo, v11, v10
	v_add_co_ci_u32_e32 v10, vcc_lo, v12, v14, vcc_lo
	v_add_co_ci_u32_e32 v11, vcc_lo, 0, v15, vcc_lo
	s_delay_alu instid0(VALU_DEP_2) | instskip(NEXT) | instid1(VALU_DEP_2)
	v_add_co_u32 v9, vcc_lo, v10, v9
	v_add_co_ci_u32_e32 v10, vcc_lo, 0, v11, vcc_lo
	s_delay_alu instid0(VALU_DEP_2) | instskip(NEXT) | instid1(VALU_DEP_2)
	v_add_co_u32 v4, vcc_lo, v4, v9
	v_add_co_ci_u32_e32 v8, vcc_lo, v8, v10, vcc_lo
	s_delay_alu instid0(VALU_DEP_2) | instskip(SKIP_1) | instid1(VALU_DEP_3)
	v_mul_hi_u32 v9, s2, v4
	v_mul_lo_u32 v11, s30, v4
	v_mul_lo_u32 v10, s2, v8
	s_delay_alu instid0(VALU_DEP_1) | instskip(SKIP_1) | instid1(VALU_DEP_2)
	v_add_nc_u32_e32 v9, v9, v10
	v_mul_lo_u32 v10, s2, v4
	v_add_nc_u32_e32 v9, v9, v11
	s_delay_alu instid0(VALU_DEP_2) | instskip(NEXT) | instid1(VALU_DEP_2)
	v_mul_hi_u32 v11, v4, v10
	v_mul_lo_u32 v12, v4, v9
	v_mul_hi_u32 v13, v4, v9
	v_mul_hi_u32 v14, v8, v10
	v_mul_lo_u32 v10, v8, v10
	v_mul_hi_u32 v15, v8, v9
	v_mul_lo_u32 v9, v8, v9
	v_add_co_u32 v11, vcc_lo, v11, v12
	v_add_co_ci_u32_e32 v12, vcc_lo, 0, v13, vcc_lo
	s_delay_alu instid0(VALU_DEP_2) | instskip(NEXT) | instid1(VALU_DEP_2)
	v_add_co_u32 v10, vcc_lo, v11, v10
	v_add_co_ci_u32_e32 v10, vcc_lo, v12, v14, vcc_lo
	v_add_co_ci_u32_e32 v11, vcc_lo, 0, v15, vcc_lo
	s_delay_alu instid0(VALU_DEP_2) | instskip(NEXT) | instid1(VALU_DEP_2)
	v_add_co_u32 v9, vcc_lo, v10, v9
	v_add_co_ci_u32_e32 v10, vcc_lo, 0, v11, vcc_lo
	s_delay_alu instid0(VALU_DEP_2) | instskip(NEXT) | instid1(VALU_DEP_2)
	v_add_co_u32 v4, vcc_lo, v4, v9
	v_add_co_ci_u32_e32 v14, vcc_lo, v8, v10, vcc_lo
	s_delay_alu instid0(VALU_DEP_2) | instskip(SKIP_1) | instid1(VALU_DEP_3)
	v_mul_hi_u32 v15, v5, v4
	v_mad_u64_u32 v[10:11], null, v6, v4, 0
	v_mad_u64_u32 v[8:9], null, v5, v14, 0
	;; [unrolled: 1-line block ×3, first 2 shown]
	s_delay_alu instid0(VALU_DEP_2) | instskip(NEXT) | instid1(VALU_DEP_3)
	v_add_co_u32 v4, vcc_lo, v15, v8
	v_add_co_ci_u32_e32 v8, vcc_lo, 0, v9, vcc_lo
	s_delay_alu instid0(VALU_DEP_2) | instskip(NEXT) | instid1(VALU_DEP_2)
	v_add_co_u32 v4, vcc_lo, v4, v10
	v_add_co_ci_u32_e32 v4, vcc_lo, v8, v11, vcc_lo
	v_add_co_ci_u32_e32 v8, vcc_lo, 0, v13, vcc_lo
	s_delay_alu instid0(VALU_DEP_2) | instskip(NEXT) | instid1(VALU_DEP_2)
	v_add_co_u32 v4, vcc_lo, v4, v12
	v_add_co_ci_u32_e32 v10, vcc_lo, 0, v8, vcc_lo
	s_delay_alu instid0(VALU_DEP_2) | instskip(SKIP_1) | instid1(VALU_DEP_3)
	v_mul_lo_u32 v11, s29, v4
	v_mad_u64_u32 v[8:9], null, s28, v4, 0
	v_mul_lo_u32 v12, s28, v10
	s_delay_alu instid0(VALU_DEP_2) | instskip(NEXT) | instid1(VALU_DEP_2)
	v_sub_co_u32 v8, vcc_lo, v5, v8
	v_add3_u32 v9, v9, v12, v11
	s_delay_alu instid0(VALU_DEP_1) | instskip(NEXT) | instid1(VALU_DEP_1)
	v_sub_nc_u32_e32 v11, v6, v9
	v_subrev_co_ci_u32_e64 v11, s2, s29, v11, vcc_lo
	v_add_co_u32 v12, s2, v4, 2
	s_delay_alu instid0(VALU_DEP_1) | instskip(SKIP_3) | instid1(VALU_DEP_3)
	v_add_co_ci_u32_e64 v13, s2, 0, v10, s2
	v_sub_co_u32 v14, s2, v8, s28
	v_sub_co_ci_u32_e32 v9, vcc_lo, v6, v9, vcc_lo
	v_subrev_co_ci_u32_e64 v11, s2, 0, v11, s2
	v_cmp_le_u32_e32 vcc_lo, s28, v14
	s_delay_alu instid0(VALU_DEP_3) | instskip(SKIP_1) | instid1(VALU_DEP_4)
	v_cmp_eq_u32_e64 s2, s29, v9
	v_cndmask_b32_e64 v14, 0, -1, vcc_lo
	v_cmp_le_u32_e32 vcc_lo, s29, v11
	v_cndmask_b32_e64 v15, 0, -1, vcc_lo
	v_cmp_le_u32_e32 vcc_lo, s28, v8
	;; [unrolled: 2-line block ×3, first 2 shown]
	v_cndmask_b32_e64 v16, 0, -1, vcc_lo
	v_cmp_eq_u32_e32 vcc_lo, s29, v11
	s_delay_alu instid0(VALU_DEP_2) | instskip(SKIP_3) | instid1(VALU_DEP_3)
	v_cndmask_b32_e64 v8, v16, v8, s2
	v_cndmask_b32_e32 v11, v15, v14, vcc_lo
	v_add_co_u32 v14, vcc_lo, v4, 1
	v_add_co_ci_u32_e32 v15, vcc_lo, 0, v10, vcc_lo
	v_cmp_ne_u32_e32 vcc_lo, 0, v11
	s_delay_alu instid0(VALU_DEP_3) | instskip(NEXT) | instid1(VALU_DEP_3)
	v_cndmask_b32_e32 v11, v14, v12, vcc_lo
	v_cndmask_b32_e32 v9, v15, v13, vcc_lo
	v_cmp_ne_u32_e32 vcc_lo, 0, v8
	s_delay_alu instid0(VALU_DEP_2)
	v_dual_cndmask_b32 v78, v4, v11 :: v_dual_cndmask_b32 v79, v10, v9
.LBB0_4:                                ;   in Loop: Header=BB0_2 Depth=1
	s_and_not1_saveexec_b32 s2, s3
	s_cbranch_execz .LBB0_6
; %bb.5:                                ;   in Loop: Header=BB0_2 Depth=1
	v_cvt_f32_u32_e32 v4, s28
	s_sub_i32 s3, 0, s28
	v_mov_b32_e32 v79, v3
	s_delay_alu instid0(VALU_DEP_2) | instskip(SKIP_2) | instid1(VALU_DEP_1)
	v_rcp_iflag_f32_e32 v4, v4
	s_waitcnt_depctr 0xfff
	v_mul_f32_e32 v4, 0x4f7ffffe, v4
	v_cvt_u32_f32_e32 v4, v4
	s_delay_alu instid0(VALU_DEP_1) | instskip(NEXT) | instid1(VALU_DEP_1)
	v_mul_lo_u32 v8, s3, v4
	v_mul_hi_u32 v8, v4, v8
	s_delay_alu instid0(VALU_DEP_1) | instskip(NEXT) | instid1(VALU_DEP_1)
	v_add_nc_u32_e32 v4, v4, v8
	v_mul_hi_u32 v4, v5, v4
	s_delay_alu instid0(VALU_DEP_1) | instskip(NEXT) | instid1(VALU_DEP_1)
	v_mul_lo_u32 v8, v4, s28
	v_sub_nc_u32_e32 v8, v5, v8
	s_delay_alu instid0(VALU_DEP_1) | instskip(SKIP_1) | instid1(VALU_DEP_2)
	v_subrev_nc_u32_e32 v10, s28, v8
	v_cmp_le_u32_e32 vcc_lo, s28, v8
	v_dual_cndmask_b32 v8, v8, v10 :: v_dual_add_nc_u32 v9, 1, v4
	s_delay_alu instid0(VALU_DEP_1) | instskip(NEXT) | instid1(VALU_DEP_2)
	v_cndmask_b32_e32 v4, v4, v9, vcc_lo
	v_cmp_le_u32_e32 vcc_lo, s28, v8
	s_delay_alu instid0(VALU_DEP_2) | instskip(NEXT) | instid1(VALU_DEP_1)
	v_add_nc_u32_e32 v9, 1, v4
	v_cndmask_b32_e32 v78, v4, v9, vcc_lo
.LBB0_6:                                ;   in Loop: Header=BB0_2 Depth=1
	s_or_b32 exec_lo, exec_lo, s2
	s_delay_alu instid0(VALU_DEP_1) | instskip(NEXT) | instid1(VALU_DEP_2)
	v_mul_lo_u32 v4, v79, s28
	v_mul_lo_u32 v10, v78, s29
	s_load_b64 s[2:3], s[22:23], 0x0
	v_mad_u64_u32 v[8:9], null, v78, s28, 0
	s_load_b64 s[28:29], s[14:15], 0x0
	s_add_u32 s26, s26, 1
	s_addc_u32 s27, s27, 0
	s_add_u32 s14, s14, 8
	s_addc_u32 s15, s15, 0
	s_add_u32 s22, s22, 8
	s_delay_alu instid0(VALU_DEP_1) | instskip(SKIP_3) | instid1(VALU_DEP_2)
	v_add3_u32 v4, v9, v10, v4
	v_sub_co_u32 v10, vcc_lo, v5, v8
	s_addc_u32 s23, s23, 0
	s_add_u32 s24, s24, 8
	v_sub_co_ci_u32_e32 v6, vcc_lo, v6, v4, vcc_lo
	s_addc_u32 s25, s25, 0
	s_waitcnt lgkmcnt(0)
	s_delay_alu instid0(VALU_DEP_1)
	v_mul_lo_u32 v11, s2, v6
	v_mul_lo_u32 v12, s3, v10
	v_mad_u64_u32 v[4:5], null, s2, v10, v[1:2]
	v_mul_lo_u32 v6, s28, v6
	v_mul_lo_u32 v13, s29, v10
	v_mad_u64_u32 v[8:9], null, s28, v10, v[76:77]
	v_cmp_ge_u64_e64 s2, s[26:27], s[10:11]
	v_add3_u32 v2, v12, v5, v11
	v_mov_b32_e32 v1, v4
	s_delay_alu instid0(VALU_DEP_4)
	v_add3_u32 v77, v13, v9, v6
	v_mov_b32_e32 v76, v8
	s_and_b32 vcc_lo, exec_lo, s2
	s_cbranch_vccnz .LBB0_9
; %bb.7:                                ;   in Loop: Header=BB0_2 Depth=1
	v_dual_mov_b32 v5, v78 :: v_dual_mov_b32 v6, v79
	s_branch .LBB0_2
.LBB0_8:
	v_dual_mov_b32 v77, v2 :: v_dual_mov_b32 v76, v1
	s_delay_alu instid0(VALU_DEP_2)
	v_dual_mov_b32 v79, v6 :: v_dual_mov_b32 v78, v5
.LBB0_9:
	s_load_b64 s[0:1], s[0:1], 0x28
	v_mul_hi_u32 v3, 0x13b13b14, v0
	s_lshl_b64 s[10:11], s[10:11], 3
	v_and_b32_e32 v4, 3, v7
	s_add_u32 s2, s18, s10
	s_addc_u32 s3, s19, s11
                                        ; implicit-def: $vgpr86
                                        ; implicit-def: $vgpr89
	s_waitcnt lgkmcnt(0)
	v_cmp_gt_u64_e32 vcc_lo, s[0:1], v[78:79]
	v_cmp_le_u64_e64 s0, s[0:1], v[78:79]
	s_delay_alu instid0(VALU_DEP_1) | instskip(NEXT) | instid1(SALU_CYCLE_1)
	s_and_saveexec_b32 s1, s0
	s_xor_b32 s0, exec_lo, s1
; %bb.10:
	v_mul_u32_u24_e32 v1, 13, v3
                                        ; implicit-def: $vgpr3
	s_delay_alu instid0(VALU_DEP_1) | instskip(NEXT) | instid1(VALU_DEP_1)
	v_sub_nc_u32_e32 v86, v0, v1
                                        ; implicit-def: $vgpr0
                                        ; implicit-def: $vgpr1_vgpr2
	v_add_nc_u32_e32 v89, 13, v86
; %bb.11:
	s_or_saveexec_b32 s1, s0
	v_mul_u32_u24_e32 v4, 0x145, v4
	s_delay_alu instid0(VALU_DEP_1)
	v_lshlrev_b32_e32 v250, 4, v4
	s_xor_b32 exec_lo, exec_lo, s1
	s_cbranch_execz .LBB0_13
; %bb.12:
	s_add_u32 s10, s16, s10
	s_addc_u32 s11, s17, s11
	v_mul_u32_u24_e32 v3, 13, v3
	s_load_b64 s[10:11], s[10:11], 0x0
	s_delay_alu instid0(VALU_DEP_1) | instskip(NEXT) | instid1(VALU_DEP_1)
	v_sub_nc_u32_e32 v86, v0, v3
	v_mad_u64_u32 v[3:4], null, s20, v86, 0
	v_add_nc_u32_e32 v89, 13, v86
	v_add_nc_u32_e32 v18, 39, v86
	;; [unrolled: 1-line block ×5, first 2 shown]
	v_dual_mov_b32 v0, v4 :: v_dual_add_nc_u32 v39, 0x82, v86
	v_mad_u64_u32 v[5:6], null, s20, v89, 0
	v_add_nc_u32_e32 v17, 26, v86
	s_waitcnt lgkmcnt(0)
	v_mul_lo_u32 v4, s11, v78
	v_mul_lo_u32 v15, s10, v79
	v_mad_u64_u32 v[11:12], null, s10, v78, 0
	v_mad_u64_u32 v[9:10], null, s20, v18, 0
	;; [unrolled: 1-line block ×3, first 2 shown]
	v_lshlrev_b64 v[0:1], 4, v[1:2]
	v_mov_b32_e32 v2, v6
	v_mad_u64_u32 v[7:8], null, s20, v17, 0
	v_add3_u32 v12, v12, v15, v4
	v_mad_u64_u32 v[28:29], null, s20, v38, 0
	s_delay_alu instid0(VALU_DEP_4)
	v_mad_u64_u32 v[14:15], null, s21, v89, v[2:3]
	v_mov_b32_e32 v4, v13
	v_mov_b32_e32 v6, v8
	;; [unrolled: 1-line block ×3, first 2 shown]
	v_lshlrev_b64 v[10:11], 4, v[11:12]
	v_mad_u64_u32 v[23:24], null, s20, v34, 0
	v_lshlrev_b64 v[2:3], 4, v[3:4]
	s_delay_alu instid0(VALU_DEP_4) | instskip(NEXT) | instid1(VALU_DEP_4)
	v_mad_u64_u32 v[12:13], null, s21, v18, v[8:9]
	v_add_co_u32 v4, s0, s4, v10
	s_delay_alu instid0(VALU_DEP_1) | instskip(SKIP_4) | instid1(VALU_DEP_1)
	v_add_co_ci_u32_e64 v10, s0, s5, v11, s0
	v_add_nc_u32_e32 v11, 52, v86
	v_mad_u64_u32 v[15:16], null, s21, v17, v[6:7]
	v_mov_b32_e32 v6, v14
	v_add_co_u32 v90, s0, v4, v0
	v_add_co_ci_u32_e64 v91, s0, v10, v1, s0
	s_delay_alu instid0(VALU_DEP_3) | instskip(SKIP_1) | instid1(VALU_DEP_4)
	v_lshlrev_b64 v[0:1], 4, v[5:6]
	v_dual_mov_b32 v8, v15 :: v_dual_add_nc_u32 v37, 0x68, v86
	v_add_co_u32 v2, s0, v90, v2
	v_add_nc_u32_e32 v14, 0x41, v86
	v_add_co_ci_u32_e64 v3, s0, v91, v3, s0
	v_add_co_u32 v4, s0, v90, v0
	s_delay_alu instid0(VALU_DEP_1) | instskip(SKIP_4) | instid1(VALU_DEP_4)
	v_add_co_ci_u32_e64 v5, s0, v91, v1, s0
	v_lshlrev_b64 v[0:1], 4, v[7:8]
	v_mad_u64_u32 v[16:17], null, s20, v11, 0
	v_mad_u64_u32 v[18:19], null, s20, v14, 0
	v_mov_b32_e32 v10, v12
	v_add_co_u32 v8, s0, v90, v0
	v_mad_u64_u32 v[30:31], null, s20, v39, 0
	s_delay_alu instid0(VALU_DEP_3) | instskip(SKIP_2) | instid1(VALU_DEP_3)
	v_lshlrev_b64 v[6:7], 4, v[9:10]
	v_add_co_ci_u32_e64 v9, s0, v91, v1, s0
	v_dual_mov_b32 v0, v17 :: v_dual_mov_b32 v1, v19
	v_add_co_u32 v12, s0, v90, v6
	s_delay_alu instid0(VALU_DEP_1) | instskip(NEXT) | instid1(VALU_DEP_3)
	v_add_co_ci_u32_e64 v13, s0, v91, v7, s0
	v_mad_u64_u32 v[19:20], null, s21, v11, v[0:1]
	v_mad_u64_u32 v[20:21], null, s21, v14, v[1:2]
	;; [unrolled: 1-line block ×3, first 2 shown]
	s_clause 0x3
	global_load_b128 v[0:3], v[2:3], off
	global_load_b128 v[4:7], v[4:5], off
	;; [unrolled: 1-line block ×4, first 2 shown]
	v_mov_b32_e32 v17, v19
	v_dual_mov_b32 v19, v20 :: v_dual_mov_b32 v20, v22
	v_dual_mov_b32 v22, v29 :: v_dual_add_nc_u32 v29, 0xc3, v86
	s_delay_alu instid0(VALU_DEP_3) | instskip(NEXT) | instid1(VALU_DEP_3)
	v_lshlrev_b64 v[16:17], 4, v[16:17]
	v_lshlrev_b64 v[18:19], 4, v[18:19]
	s_delay_alu instid0(VALU_DEP_4) | instskip(SKIP_4) | instid1(VALU_DEP_3)
	v_mad_u64_u32 v[25:26], null, s21, v27, v[20:21]
	v_mad_u64_u32 v[26:27], null, s20, v37, 0
	v_mov_b32_e32 v20, v24
	v_mad_u64_u32 v[45:46], null, s20, v29, 0
	v_add_co_u32 v16, s0, v90, v16
	v_mad_u64_u32 v[32:33], null, s21, v34, v[20:21]
	v_dual_mov_b32 v20, v27 :: v_dual_add_nc_u32 v27, 0xa9, v86
	v_add_co_ci_u32_e64 v17, s0, v91, v17, s0
	s_delay_alu instid0(VALU_DEP_2) | instskip(SKIP_4) | instid1(VALU_DEP_4)
	v_mad_u64_u32 v[35:36], null, s21, v37, v[20:21]
	v_mov_b32_e32 v20, v31
	v_mad_u64_u32 v[36:37], null, s21, v38, v[22:23]
	v_add_nc_u32_e32 v22, 0x9c, v86
	v_or_b32_e32 v31, 0xd0, v86
	v_mad_u64_u32 v[37:38], null, s21, v39, v[20:21]
	v_add_nc_u32_e32 v24, 0x8f, v86
	s_delay_alu instid0(VALU_DEP_4) | instskip(NEXT) | instid1(VALU_DEP_2)
	v_mad_u64_u32 v[38:39], null, s20, v22, 0
	v_mad_u64_u32 v[33:34], null, s20, v24, 0
	s_delay_alu instid0(VALU_DEP_1) | instskip(SKIP_1) | instid1(VALU_DEP_2)
	v_mov_b32_e32 v20, v34
	v_add_nc_u32_e32 v34, 0x11e, v86
	v_mad_u64_u32 v[40:41], null, s21, v24, v[20:21]
	v_add_nc_u32_e32 v24, 0xb6, v86
	v_mad_u64_u32 v[41:42], null, s20, v27, 0
	v_dual_mov_b32 v20, v39 :: v_dual_add_nc_u32 v39, 0x12b, v86
	s_delay_alu instid0(VALU_DEP_3) | instskip(NEXT) | instid1(VALU_DEP_2)
	v_mad_u64_u32 v[43:44], null, s20, v24, 0
	v_mad_u64_u32 v[47:48], null, s21, v22, v[20:21]
	s_delay_alu instid0(VALU_DEP_4) | instskip(SKIP_1) | instid1(VALU_DEP_4)
	v_mov_b32_e32 v20, v42
	v_mad_u64_u32 v[48:49], null, s20, v31, 0
	v_mov_b32_e32 v22, v44
	v_add_nc_u32_e32 v42, 0x138, v86
	s_delay_alu instid0(VALU_DEP_4) | instskip(SKIP_1) | instid1(VALU_DEP_4)
	v_mad_u64_u32 v[50:51], null, s21, v27, v[20:21]
	v_mov_b32_e32 v20, v46
	v_mad_u64_u32 v[51:52], null, s21, v24, v[22:23]
	v_add_nc_u32_e32 v22, 0xdd, v86
	v_add_nc_u32_e32 v24, 0xea, v86
	s_delay_alu instid0(VALU_DEP_4) | instskip(SKIP_1) | instid1(VALU_DEP_4)
	v_mad_u64_u32 v[52:53], null, s21, v29, v[20:21]
	v_mov_b32_e32 v20, v49
	v_mad_u64_u32 v[53:54], null, s20, v22, 0
	v_add_nc_u32_e32 v27, 0xf7, v86
	v_add_nc_u32_e32 v29, 0x104, v86
	s_delay_alu instid0(VALU_DEP_4)
	v_mad_u64_u32 v[55:56], null, s21, v31, v[20:21]
	v_mad_u64_u32 v[56:57], null, s20, v24, 0
	v_mov_b32_e32 v20, v54
	v_mad_u64_u32 v[58:59], null, s20, v27, 0
	v_add_nc_u32_e32 v31, 0x111, v86
	v_mad_u64_u32 v[60:61], null, s20, v29, 0
	s_delay_alu instid0(VALU_DEP_4) | instskip(NEXT) | instid1(VALU_DEP_3)
	v_mad_u64_u32 v[62:63], null, s21, v22, v[20:21]
	v_mad_u64_u32 v[63:64], null, s20, v31, 0
	v_mov_b32_e32 v20, v57
	v_mov_b32_e32 v22, v59
	v_mad_u64_u32 v[73:74], null, s20, v42, 0
	v_mov_b32_e32 v46, v52
	s_delay_alu instid0(VALU_DEP_4) | instskip(SKIP_4) | instid1(VALU_DEP_4)
	v_mad_u64_u32 v[65:66], null, s21, v24, v[20:21]
	v_mov_b32_e32 v20, v61
	v_mad_u64_u32 v[66:67], null, s21, v27, v[22:23]
	v_mov_b32_e32 v22, v64
	v_mad_u64_u32 v[67:68], null, s20, v34, 0
	v_mad_u64_u32 v[69:70], null, s21, v29, v[20:21]
	s_delay_alu instid0(VALU_DEP_3) | instskip(SKIP_1) | instid1(VALU_DEP_4)
	v_mad_u64_u32 v[70:71], null, s21, v31, v[22:23]
	v_mad_u64_u32 v[71:72], null, s20, v39, 0
	v_mov_b32_e32 v20, v68
	v_mov_b32_e32 v22, v25
	;; [unrolled: 1-line block ×3, first 2 shown]
	v_dual_mov_b32 v25, v74 :: v_dual_mov_b32 v24, v32
	s_delay_alu instid0(VALU_DEP_4) | instskip(SKIP_3) | instid1(VALU_DEP_3)
	v_mad_u64_u32 v[80:81], null, s21, v34, v[20:21]
	v_dual_mov_b32 v20, v72 :: v_dual_mov_b32 v27, v35
	v_mov_b32_e32 v29, v36
	v_dual_mov_b32 v31, v37 :: v_dual_mov_b32 v34, v40
	v_mad_u64_u32 v[35:36], null, s21, v39, v[20:21]
	v_mov_b32_e32 v39, v47
	v_mov_b32_e32 v59, v66
	v_lshlrev_b64 v[20:21], 4, v[21:22]
	v_mad_u64_u32 v[36:37], null, s21, v42, v[25:26]
	v_dual_mov_b32 v42, v50 :: v_dual_mov_b32 v49, v55
	v_lshlrev_b64 v[22:23], 4, v[23:24]
	v_lshlrev_b64 v[24:25], 4, v[26:27]
	;; [unrolled: 1-line block ×8, first 2 shown]
	v_add_co_u32 v58, s0, v90, v18
	s_delay_alu instid0(VALU_DEP_1)
	v_add_co_ci_u32_e64 v59, s0, v91, v19, s0
	v_mov_b32_e32 v64, v70
	v_mov_b32_e32 v72, v35
	v_lshlrev_b64 v[34:35], 4, v[41:42]
	v_lshlrev_b64 v[40:41], 4, v[48:49]
	v_lshlrev_b64 v[48:49], 4, v[60:61]
	v_add_co_u32 v60, s0, v90, v20
	s_delay_alu instid0(VALU_DEP_1)
	v_add_co_ci_u32_e64 v61, s0, v91, v21, s0
	v_mov_b32_e32 v54, v62
	v_add_co_u32 v62, s0, v90, v22
	v_mov_b32_e32 v44, v51
	v_lshlrev_b64 v[50:51], 4, v[63:64]
	v_add_co_ci_u32_e64 v63, s0, v91, v23, s0
	v_mov_b32_e32 v68, v80
	v_add_co_u32 v64, s0, v90, v24
	v_mov_b32_e32 v57, v65
	v_add_co_ci_u32_e64 v65, s0, v91, v25, s0
	v_add_co_u32 v66, s0, v90, v26
	v_mov_b32_e32 v74, v36
	v_lshlrev_b64 v[36:37], 4, v[43:44]
	v_lshlrev_b64 v[42:43], 4, v[53:54]
	;; [unrolled: 1-line block ×3, first 2 shown]
	v_add_co_ci_u32_e64 v67, s0, v91, v27, s0
	v_add_co_u32 v68, s0, v90, v28
	s_delay_alu instid0(VALU_DEP_1)
	v_add_co_ci_u32_e64 v69, s0, v91, v29, s0
	v_add_co_u32 v70, s0, v90, v30
	v_lshlrev_b64 v[54:55], 4, v[71:72]
	v_add_co_ci_u32_e64 v71, s0, v91, v31, s0
	v_add_co_u32 v72, s0, v90, v32
	v_lshlrev_b64 v[44:45], 4, v[56:57]
	v_lshlrev_b64 v[56:57], 4, v[73:74]
	v_add_co_ci_u32_e64 v73, s0, v91, v33, s0
	v_add_co_u32 v74, s0, v90, v34
	s_delay_alu instid0(VALU_DEP_1) | instskip(SKIP_1) | instid1(VALU_DEP_1)
	v_add_co_ci_u32_e64 v75, s0, v91, v35, s0
	v_add_co_u32 v80, s0, v90, v36
	v_add_co_ci_u32_e64 v81, s0, v91, v37, s0
	v_add_co_u32 v82, s0, v90, v38
	s_delay_alu instid0(VALU_DEP_1) | instskip(SKIP_1) | instid1(VALU_DEP_1)
	v_add_co_ci_u32_e64 v83, s0, v91, v39, s0
	v_add_co_u32 v84, s0, v90, v40
	v_add_co_ci_u32_e64 v85, s0, v91, v41, s0
	v_add_co_u32 v87, s0, v90, v42
	s_delay_alu instid0(VALU_DEP_1) | instskip(SKIP_1) | instid1(VALU_DEP_1)
	v_add_co_ci_u32_e64 v88, s0, v91, v43, s0
	v_add_co_u32 v92, s0, v90, v44
	v_add_co_ci_u32_e64 v93, s0, v91, v45, s0
	v_add_co_u32 v94, s0, v90, v46
	s_delay_alu instid0(VALU_DEP_1) | instskip(SKIP_1) | instid1(VALU_DEP_1)
	v_add_co_ci_u32_e64 v95, s0, v91, v47, s0
	v_add_co_u32 v96, s0, v90, v48
	v_add_co_ci_u32_e64 v97, s0, v91, v49, s0
	v_add_co_u32 v98, s0, v90, v50
	s_delay_alu instid0(VALU_DEP_1) | instskip(SKIP_1) | instid1(VALU_DEP_1)
	v_add_co_ci_u32_e64 v99, s0, v91, v51, s0
	v_add_co_u32 v100, s0, v90, v52
	v_add_co_ci_u32_e64 v101, s0, v91, v53, s0
	v_add_co_u32 v104, s0, v90, v54
	s_delay_alu instid0(VALU_DEP_1) | instskip(SKIP_1) | instid1(VALU_DEP_1)
	v_add_co_ci_u32_e64 v105, s0, v91, v55, s0
	v_add_co_u32 v108, s0, v90, v56
	v_add_co_ci_u32_e64 v109, s0, v91, v57, s0
	s_clause 0x14
	global_load_b128 v[16:19], v[16:17], off
	global_load_b128 v[20:23], v[58:59], off
	;; [unrolled: 1-line block ×21, first 2 shown]
	v_lshlrev_b32_e32 v84, 4, v86
	s_delay_alu instid0(VALU_DEP_1)
	v_add3_u32 v84, 0, v250, v84
	s_waitcnt vmcnt(24)
	ds_store_b128 v84, v[0:3]
	s_waitcnt vmcnt(23)
	ds_store_b128 v84, v[4:7] offset:208
	s_waitcnt vmcnt(22)
	ds_store_b128 v84, v[8:11] offset:416
	;; [unrolled: 2-line block ×24, first 2 shown]
.LBB0_13:
	s_or_b32 exec_lo, exec_lo, s1
	v_lshlrev_b32_e32 v0, 4, v86
	v_add_nc_u32_e32 v87, 0, v250
	s_load_b64 s[2:3], s[2:3], 0x0
	s_waitcnt lgkmcnt(0)
	s_barrier
	v_add_nc_u32_e32 v1, 0, v0
	v_add_nc_u32_e32 v0, v87, v0
	buffer_gl0_inv
	s_mov_b32 s10, 0x4267c47c
	s_mov_b32 s24, 0x42a4c3d2
	v_add_nc_u32_e32 v88, v1, v250
	scratch_store_b32 off, v0, off          ; 4-byte Folded Spill
	s_mov_b32 s22, 0x66966769
	s_mov_b32 s30, 0x2ef20147
	;; [unrolled: 1-line block ×3, first 2 shown]
	ds_load_b128 v[56:59], v88 offset:400
	ds_load_b128 v[52:55], v0
	ds_load_b128 v[0:3], v88 offset:208
	ds_load_b128 v[4:7], v88 offset:608
	s_mov_b32 s4, 0x4bc48dbf
	s_mov_b32 s11, 0xbfddbe06
	;; [unrolled: 1-line block ×19, first 2 shown]
	s_waitcnt lgkmcnt(0)
	scratch_store_b128 off, v[4:7], off offset:20 ; 16-byte Folded Spill
	v_add_f64 v[4:5], v[52:53], v[56:57]
	v_add_f64 v[6:7], v[54:55], v[58:59]
	ds_load_b128 v[64:67], v88 offset:800
	ds_load_b128 v[8:11], v88 offset:1008
	s_mov_b32 s37, 0x3fe5384d
	s_mov_b32 s41, 0x3fefc445
	;; [unrolled: 1-line block ×12, first 2 shown]
	s_mov_b32 s1, exec_lo
	s_waitcnt lgkmcnt(0)
	scratch_store_b128 off, v[8:11], off offset:36 ; 16-byte Folded Spill
	v_add_f64 v[16:17], v[4:5], v[64:65]
	v_add_f64 v[18:19], v[6:7], v[66:67]
	ds_load_b128 v[68:71], v88 offset:1200
	ds_load_b128 v[4:7], v88 offset:1408
	;; [unrolled: 1-line block ×8, first 2 shown]
	s_waitcnt lgkmcnt(6)
	scratch_store_b128 off, v[4:7], off offset:4 ; 16-byte Folded Spill
	ds_load_b128 v[100:103], v88 offset:3200
	ds_load_b128 v[4:7], v88 offset:5008
	;; [unrolled: 1-line block ×3, first 2 shown]
	s_waitcnt lgkmcnt(5)
	v_add_f64 v[126:127], v[70:71], -v[98:99]
	s_waitcnt lgkmcnt(4)
	v_add_f64 v[84:85], v[58:59], -v[62:63]
	v_add_f64 v[116:117], v[56:57], -v[60:61]
	s_waitcnt lgkmcnt(3)
	v_add_f64 v[122:123], v[66:67], -v[94:95]
	v_add_f64 v[124:125], v[64:65], -v[92:93]
	;; [unrolled: 1-line block ×3, first 2 shown]
	v_add_f64 v[56:57], v[56:57], v[60:61]
	v_add_f64 v[58:59], v[58:59], v[62:63]
	;; [unrolled: 1-line block ×8, first 2 shown]
	s_waitcnt lgkmcnt(2)
	v_add_f64 v[130:131], v[80:81], v[100:101]
	s_waitcnt lgkmcnt(1)
	scratch_store_b128 off, v[4:7], off offset:52 ; 16-byte Folded Spill
	ds_load_b128 v[108:111], v88 offset:2400
	ds_load_b128 v[112:115], v88 offset:2800
	v_add_f64 v[132:133], v[82:83], v[102:103]
	s_waitcnt lgkmcnt(2)
	v_add_f64 v[134:135], v[74:75], -v[106:107]
	ds_load_b128 v[48:51], v88 offset:2208
	ds_load_b128 v[44:47], v88 offset:2608
	;; [unrolled: 1-line block ×4, first 2 shown]
	v_add_f64 v[144:145], v[72:73], v[104:105]
	v_mul_f64 v[166:167], v[126:127], s[22:23]
	s_waitcnt lgkmcnt(4)
	v_add_f64 v[136:137], v[108:109], v[112:113]
	v_add_f64 v[138:139], v[110:111], v[114:115]
	v_add_f64 v[140:141], v[108:109], -v[112:113]
	v_add_f64 v[142:143], v[110:111], -v[114:115]
	v_mul_f64 v[146:147], v[84:85], s[10:11]
	v_mul_f64 v[148:149], v[84:85], s[24:25]
	;; [unrolled: 1-line block ×7, first 2 shown]
	v_add_f64 v[20:21], v[16:17], v[72:73]
	v_add_f64 v[22:23], v[18:19], v[74:75]
	v_mul_f64 v[158:159], v[116:117], s[24:25]
	v_mul_f64 v[160:161], v[116:117], s[22:23]
	;; [unrolled: 1-line block ×24, first 2 shown]
	v_add_f64 v[74:75], v[74:75], v[106:107]
	v_add_f64 v[72:73], v[72:73], -v[104:105]
	v_mul_f64 v[178:179], v[134:135], s[36:37]
	v_mul_f64 v[188:189], v[134:135], s[38:39]
	;; [unrolled: 1-line block ×3, first 2 shown]
	v_fma_f64 v[210:211], v[56:57], s[16:17], -v[146:147]
	v_fma_f64 v[146:147], v[56:57], s[16:17], v[146:147]
	v_fma_f64 v[212:213], v[56:57], s[28:29], -v[148:149]
	v_fma_f64 v[148:149], v[56:57], s[28:29], v[148:149]
	v_fma_f64 v[214:215], v[56:57], s[26:27], -v[150:151]
	v_fma_f64 v[150:151], v[56:57], s[26:27], v[150:151]
	v_fma_f64 v[216:217], v[56:57], s[34:35], -v[152:153]
	v_add_f64 v[118:119], v[20:21], v[80:81]
	v_add_f64 v[120:121], v[22:23], v[82:83]
	v_add_f64 v[80:81], v[80:81], -v[100:101]
	v_add_f64 v[82:83], v[82:83], -v[102:103]
	v_fma_f64 v[218:219], v[58:59], s[28:29], v[158:159]
	v_fma_f64 v[158:159], v[58:59], s[28:29], -v[158:159]
	v_fma_f64 v[220:221], v[58:59], s[26:27], v[160:161]
	v_fma_f64 v[160:161], v[58:59], s[26:27], -v[160:161]
	;; [unrolled: 2-line block ×4, first 2 shown]
	v_fma_f64 v[226:227], v[58:59], s[18:19], v[116:117]
	v_mul_f64 v[208:209], v[134:135], s[42:43]
	v_fma_f64 v[230:231], v[68:69], s[26:27], -v[166:167]
	v_fma_f64 v[232:233], v[70:71], s[26:27], v[168:169]
	v_fma_f64 v[234:235], v[64:65], s[34:35], -v[170:171]
	v_fma_f64 v[236:237], v[66:67], s[34:35], v[172:173]
	;; [unrolled: 2-line block ×3, first 2 shown]
	v_fma_f64 v[170:171], v[64:65], s[34:35], v[170:171]
	v_fma_f64 v[172:173], v[66:67], s[34:35], -v[172:173]
	v_fma_f64 v[174:175], v[68:69], s[18:19], v[174:175]
	v_fma_f64 v[176:177], v[70:71], s[18:19], -v[176:177]
	v_fma_f64 v[242:243], v[64:65], s[18:19], -v[180:181]
	v_fma_f64 v[244:245], v[66:67], s[18:19], v[182:183]
	v_fma_f64 v[246:247], v[68:69], s[34:35], -v[184:185]
	v_fma_f64 v[248:249], v[70:71], s[34:35], v[186:187]
	v_fma_f64 v[180:181], v[64:65], s[18:19], v[180:181]
	v_fma_f64 v[182:183], v[66:67], s[18:19], -v[182:183]
	v_fma_f64 v[184:185], v[68:69], s[34:35], v[184:185]
	v_fma_f64 v[24:25], v[68:69], s[16:17], -v[194:195]
	v_fma_f64 v[252:253], v[70:71], s[16:17], v[196:197]
	v_fma_f64 v[194:195], v[68:69], s[16:17], v[194:195]
	v_fma_f64 v[196:197], v[70:71], s[16:17], -v[196:197]
	v_fma_f64 v[254:255], v[64:65], s[26:27], -v[200:201]
	v_add_f64 v[210:211], v[52:53], v[210:211]
	v_add_f64 v[146:147], v[52:53], v[146:147]
	;; [unrolled: 1-line block ×4, first 2 shown]
	v_mul_f64 v[118:119], v[122:123], s[24:25]
	v_mul_f64 v[120:121], v[124:125], s[24:25]
	;; [unrolled: 1-line block ×4, first 2 shown]
	v_add_f64 v[212:213], v[52:53], v[212:213]
	v_add_f64 v[218:219], v[54:55], v[218:219]
	;; [unrolled: 1-line block ×14, first 2 shown]
	s_waitcnt lgkmcnt(0)
	scratch_store_b128 off, v[4:7], off offset:84 ; 16-byte Folded Spill
	ds_load_b128 v[4:7], v88 offset:4608
	v_fma_f64 v[90:91], v[144:145], s[20:21], -v[178:179]
	v_fma_f64 v[178:179], v[144:145], s[20:21], v[178:179]
	v_fma_f64 v[8:9], v[144:145], s[18:19], -v[208:209]
	v_fma_f64 v[10:11], v[144:145], s[18:19], v[208:209]
	v_add_f64 v[108:109], v[108:109], v[112:113]
	v_add_f64 v[110:111], v[110:111], v[114:115]
	v_fma_f64 v[112:113], v[56:57], s[34:35], v[152:153]
	v_fma_f64 v[114:115], v[56:57], s[20:21], -v[154:155]
	v_fma_f64 v[152:153], v[56:57], s[20:21], v[154:155]
	v_fma_f64 v[154:155], v[56:57], s[18:19], -v[84:85]
	v_fma_f64 v[56:57], v[56:57], s[18:19], v[84:85]
	v_fma_f64 v[84:85], v[58:59], s[16:17], v[156:157]
	v_fma_f64 v[156:157], v[58:59], s[16:17], -v[156:157]
	v_fma_f64 v[58:59], v[58:59], s[18:19], -v[116:117]
	;; [unrolled: 1-line block ×3, first 2 shown]
	v_fma_f64 v[228:229], v[66:67], s[28:29], v[120:121]
	s_waitcnt lgkmcnt(0)
	scratch_store_b128 off, v[4:7], off offset:68 ; 16-byte Folded Spill
	v_fma_f64 v[4:5], v[144:145], s[16:17], -v[188:189]
	v_fma_f64 v[6:7], v[144:145], s[16:17], v[188:189]
	v_fma_f64 v[188:189], v[144:145], s[26:27], -v[198:199]
	v_fma_f64 v[198:199], v[144:145], s[26:27], v[198:199]
	v_add_f64 v[148:149], v[170:171], v[148:149]
	v_mul_f64 v[170:171], v[72:73], s[36:37]
	v_add_f64 v[150:151], v[180:181], v[150:151]
	v_add_f64 v[160:161], v[182:183], v[160:161]
	v_mul_f64 v[182:183], v[82:83], s[14:15]
	ds_load_b128 v[28:31], v88 offset:3408
	ds_load_b128 v[32:35], v88 offset:3808
	scratch_store_b32 off, v87, off offset:100 ; 4-byte Folded Spill
	s_waitcnt lgkmcnt(0)
	s_waitcnt_vscnt null, 0x0
	s_barrier
	buffer_gl0_inv
	v_add_f64 v[100:101], v[108:109], v[100:101]
	v_add_f64 v[102:103], v[110:111], v[102:103]
	v_fma_f64 v[108:109], v[70:71], s[34:35], -v[186:187]
	v_fma_f64 v[110:111], v[64:65], s[20:21], -v[190:191]
	v_fma_f64 v[186:187], v[66:67], s[20:21], v[192:193]
	v_fma_f64 v[190:191], v[64:65], s[20:21], v[190:191]
	v_fma_f64 v[192:193], v[66:67], s[20:21], -v[192:193]
	v_add_f64 v[84:85], v[54:55], v[84:85]
	v_add_f64 v[156:157], v[54:55], v[156:157]
	;; [unrolled: 1-line block ×8, first 2 shown]
	v_fma_f64 v[56:57], v[66:67], s[26:27], v[202:203]
	v_fma_f64 v[58:59], v[68:69], s[28:29], -v[204:205]
	v_add_f64 v[116:117], v[116:117], v[210:211]
	v_mul_f64 v[210:211], v[72:73], s[38:39]
	v_add_f64 v[148:149], v[174:175], v[148:149]
	v_mul_f64 v[174:175], v[80:81], s[42:43]
	;; [unrolled: 2-line block ×3, first 2 shown]
	v_add_f64 v[100:101], v[100:101], v[104:105]
	v_add_f64 v[102:103], v[102:103], v[106:107]
	v_fma_f64 v[104:105], v[70:71], s[28:29], v[206:207]
	v_fma_f64 v[106:107], v[64:65], s[26:27], v[200:201]
	v_fma_f64 v[200:201], v[66:67], s[26:27], -v[202:203]
	v_fma_f64 v[202:203], v[68:69], s[28:29], v[204:205]
	v_fma_f64 v[204:205], v[70:71], s[28:29], -v[206:207]
	v_fma_f64 v[206:207], v[64:65], s[16:17], -v[122:123]
	v_fma_f64 v[122:123], v[64:65], s[16:17], v[122:123]
	v_fma_f64 v[64:65], v[64:65], s[28:29], v[118:119]
	;; [unrolled: 1-line block ×3, first 2 shown]
	v_fma_f64 v[124:125], v[66:67], s[16:17], -v[124:125]
	v_fma_f64 v[66:67], v[66:67], s[28:29], -v[120:121]
	;; [unrolled: 1-line block ×3, first 2 shown]
	v_fma_f64 v[126:127], v[68:69], s[20:21], v[126:127]
	v_fma_f64 v[68:69], v[68:69], s[26:27], v[166:167]
	;; [unrolled: 1-line block ×3, first 2 shown]
	v_fma_f64 v[128:129], v[70:71], s[20:21], -v[128:129]
	v_fma_f64 v[70:71], v[70:71], s[26:27], -v[168:169]
	v_mul_f64 v[168:169], v[134:135], s[46:47]
	v_mul_f64 v[134:135], v[134:135], s[30:31]
	v_add_f64 v[84:85], v[228:229], v[84:85]
	v_mul_f64 v[228:229], v[72:73], s[46:47]
	v_add_f64 v[110:111], v[110:111], v[216:217]
	v_add_f64 v[180:181], v[186:187], v[222:223]
	;; [unrolled: 1-line block ×6, first 2 shown]
	v_mul_f64 v[192:193], v[82:83], s[40:41]
	v_add_f64 v[116:117], v[230:231], v[116:117]
	v_mul_f64 v[216:217], v[82:83], s[42:43]
	v_add_f64 v[108:109], v[108:109], v[160:161]
	v_mul_f64 v[222:223], v[82:83], s[38:39]
	v_mul_f64 v[160:161], v[142:143], s[30:31]
	;; [unrolled: 1-line block ×5, first 2 shown]
	v_add_f64 v[96:97], v[100:101], v[96:97]
	v_add_f64 v[98:99], v[102:103], v[98:99]
	;; [unrolled: 1-line block ×5, first 2 shown]
	v_mul_f64 v[152:153], v[80:81], s[14:15]
	v_mul_f64 v[200:201], v[80:81], s[24:25]
	v_add_f64 v[154:155], v[206:207], v[154:155]
	v_add_f64 v[52:53], v[122:123], v[52:53]
	v_add_f64 v[64:65], v[64:65], v[146:147]
	v_add_f64 v[118:119], v[118:119], v[226:227]
	v_add_f64 v[54:55], v[124:125], v[54:55]
	v_add_f64 v[66:67], v[66:67], v[156:157]
	v_mul_f64 v[122:123], v[80:81], s[40:41]
	v_mul_f64 v[156:157], v[82:83], s[24:25]
	;; [unrolled: 1-line block ×6, first 2 shown]
	v_fma_f64 v[208:209], v[144:145], s[28:29], -v[168:169]
	v_fma_f64 v[168:169], v[144:145], s[28:29], v[168:169]
	v_fma_f64 v[12:13], v[144:145], s[34:35], -v[134:135]
	v_fma_f64 v[14:15], v[144:145], s[34:35], v[134:135]
	v_add_f64 v[134:135], v[234:235], v[212:213]
	v_add_f64 v[144:145], v[236:237], v[218:219]
	v_mul_f64 v[212:213], v[72:73], s[22:23]
	v_mul_f64 v[218:219], v[72:73], s[42:43]
	;; [unrolled: 1-line block ×3, first 2 shown]
	v_fma_f64 v[234:235], v[74:75], s[20:21], v[170:171]
	v_fma_f64 v[170:171], v[74:75], s[20:21], -v[170:171]
	v_fma_f64 v[236:237], v[74:75], s[16:17], v[210:211]
	v_fma_f64 v[210:211], v[74:75], s[16:17], -v[210:211]
	;; [unrolled: 2-line block ×3, first 2 shown]
	v_add_f64 v[84:85], v[232:233], v[84:85]
	v_add_f64 v[110:111], v[24:25], v[110:111]
	;; [unrolled: 1-line block ×9, first 2 shown]
	v_fma_f64 v[194:195], v[132:133], s[20:21], v[152:153]
	v_fma_f64 v[104:105], v[130:131], s[26:27], -v[192:193]
	v_add_f64 v[120:121], v[120:121], v[154:155]
	v_add_f64 v[52:53], v[126:127], v[52:53]
	v_add_f64 v[64:65], v[68:69], v[64:65]
	v_add_f64 v[118:119], v[166:167], v[118:119]
	v_add_f64 v[54:55], v[128:129], v[54:55]
	v_add_f64 v[66:67], v[70:71], v[66:67]
	v_fma_f64 v[202:203], v[132:133], s[26:27], v[122:123]
	v_mul_f64 v[206:207], v[142:143], s[14:15]
	v_fma_f64 v[166:167], v[130:131], s[28:29], -v[156:157]
	v_fma_f64 v[126:127], v[132:133], s[28:29], v[200:201]
	v_fma_f64 v[192:193], v[130:131], s[26:27], v[192:193]
	v_fma_f64 v[200:201], v[132:133], s[28:29], -v[200:201]
	v_fma_f64 v[128:129], v[130:131], s[18:19], -v[216:217]
	v_fma_f64 v[68:69], v[132:133], s[18:19], v[174:175]
	v_add_f64 v[12:13], v[12:13], v[116:117]
	v_add_f64 v[116:117], v[178:179], v[148:149]
	;; [unrolled: 1-line block ×4, first 2 shown]
	v_fma_f64 v[16:17], v[74:75], s[26:27], v[212:213]
	v_fma_f64 v[18:19], v[74:75], s[26:27], -v[212:213]
	v_fma_f64 v[212:213], v[74:75], s[18:19], v[218:219]
	v_fma_f64 v[218:219], v[74:75], s[18:19], -v[218:219]
	;; [unrolled: 2-line block ×3, first 2 shown]
	v_add_f64 v[74:75], v[172:173], v[158:159]
	v_add_f64 v[158:159], v[242:243], v[214:215]
	;; [unrolled: 1-line block ×3, first 2 shown]
	v_mul_f64 v[214:215], v[140:141], s[14:15]
	v_mul_f64 v[220:221], v[140:141], s[46:47]
	v_add_f64 v[108:109], v[210:211], v[108:109]
	v_add_f64 v[110:111], v[188:189], v[110:111]
	v_fma_f64 v[122:123], v[132:133], s[26:27], -v[122:123]
	v_fma_f64 v[100:101], v[130:131], s[18:19], v[216:217]
	v_fma_f64 v[148:149], v[132:133], s[16:17], v[184:185]
	v_add_f64 v[112:113], v[198:199], v[112:113]
	v_add_f64 v[8:9], v[8:9], v[58:59]
	v_mul_f64 v[140:141], v[140:141], s[40:41]
	v_add_f64 v[10:11], v[10:11], v[106:107]
	v_add_f64 v[106:107], v[208:209], v[120:121]
	v_fma_f64 v[156:157], v[130:131], s[28:29], v[156:157]
	v_fma_f64 v[58:59], v[132:133], s[34:35], -v[80:81]
	v_add_f64 v[20:21], v[20:21], v[118:119]
	v_add_f64 v[52:53], v[168:169], v[52:53]
	;; [unrolled: 1-line block ×3, first 2 shown]
	v_fma_f64 v[226:227], v[130:131], s[20:21], -v[182:183]
	v_fma_f64 v[150:151], v[130:131], s[16:17], v[222:223]
	v_fma_f64 v[118:119], v[132:133], s[20:21], -v[152:153]
	v_add_f64 v[14:15], v[14:15], v[64:65]
	v_fma_f64 v[204:205], v[136:137], s[16:17], -v[124:125]
	v_fma_f64 v[154:155], v[138:139], s[16:17], v[146:147]
	v_fma_f64 v[114:115], v[138:139], s[18:19], v[190:191]
	;; [unrolled: 1-line block ×3, first 2 shown]
	v_fma_f64 v[196:197], v[136:137], s[18:19], -v[186:187]
	v_add_f64 v[16:17], v[16:17], v[180:181]
	v_add_f64 v[18:19], v[18:19], v[162:163]
	;; [unrolled: 1-line block ×3, first 2 shown]
	v_fma_f64 v[162:163], v[132:133], s[34:35], v[80:81]
	v_add_f64 v[70:71], v[228:229], v[84:85]
	v_add_f64 v[84:85], v[90:91], v[134:135]
	;; [unrolled: 1-line block ×6, first 2 shown]
	v_mul_f64 v[176:177], v[142:143], s[46:47]
	v_fma_f64 v[144:145], v[130:131], s[16:17], -v[222:223]
	v_mul_f64 v[142:143], v[142:143], s[40:41]
	v_fma_f64 v[134:135], v[132:133], s[18:19], -v[174:175]
	v_add_f64 v[120:121], v[218:219], v[164:165]
	v_fma_f64 v[80:81], v[130:131], s[20:21], v[182:183]
	v_add_f64 v[54:55], v[72:73], v[66:67]
	v_add_f64 v[72:73], v[192:193], v[116:117]
	v_add_f64 v[116:117], v[200:201], v[108:109]
	v_add_f64 v[112:113], v[100:101], v[112:113]
	v_add_f64 v[6:7], v[156:157], v[6:7]
	v_add_f64 v[22:23], v[58:59], v[22:23]
	v_add_f64 v[12:13], v[226:227], v[12:13]
	v_add_f64 v[10:11], v[150:151], v[10:11]
	v_fma_f64 v[150:151], v[138:139], s[34:35], -v[224:225]
	v_add_f64 v[16:17], v[68:69], v[16:17]
	v_add_f64 v[100:101], v[148:149], v[56:57]
	;; [unrolled: 1-line block ×8, first 2 shown]
	v_fma_f64 v[170:171], v[130:131], s[34:35], -v[82:83]
	v_fma_f64 v[82:83], v[130:131], s[34:35], v[82:83]
	v_fma_f64 v[158:159], v[132:133], s[16:17], -v[184:185]
	v_add_f64 v[70:71], v[202:203], v[90:91]
	v_add_f64 v[84:85], v[96:97], v[92:93]
	;; [unrolled: 1-line block ×3, first 2 shown]
	v_fma_f64 v[96:97], v[136:137], s[20:21], -v[206:207]
	v_fma_f64 v[98:99], v[138:139], s[20:21], v[214:215]
	v_add_f64 v[104:105], v[128:129], v[110:111]
	v_fma_f64 v[108:109], v[136:137], s[28:29], -v[176:177]
	v_fma_f64 v[110:111], v[138:139], s[28:29], v[220:221]
	v_fma_f64 v[92:93], v[138:139], s[16:17], -v[146:147]
	v_add_f64 v[8:9], v[144:145], v[8:9]
	v_fma_f64 v[130:131], v[136:137], s[34:35], -v[160:161]
	v_fma_f64 v[132:133], v[138:139], s[34:35], v[224:225]
	v_add_f64 v[18:19], v[134:135], v[18:19]
	v_fma_f64 v[134:135], v[136:137], s[26:27], -v[142:143]
	v_fma_f64 v[144:145], v[138:139], s[26:27], v[140:141]
	v_fma_f64 v[142:143], v[136:137], s[26:27], v[142:143]
	v_fma_f64 v[140:141], v[138:139], s[26:27], -v[140:141]
	v_fma_f64 v[148:149], v[136:137], s[34:35], v[160:161]
	v_fma_f64 v[128:129], v[138:139], s[28:29], -v[220:221]
	v_add_f64 v[14:15], v[80:81], v[14:15]
	v_add_f64 v[118:119], v[118:119], v[54:55]
	;; [unrolled: 1-line block ×9, first 2 shown]
	v_fma_f64 v[102:103], v[136:137], s[20:21], v[206:207]
	v_add_f64 v[146:147], v[82:83], v[52:53]
	v_add_f64 v[120:121], v[158:159], v[120:121]
	v_fma_f64 v[126:127], v[136:137], s[28:29], v[176:177]
	v_fma_f64 v[122:123], v[138:139], s[20:21], -v[214:215]
	v_fma_f64 v[136:137], v[136:137], s[18:19], v[186:187]
	v_fma_f64 v[138:139], v[138:139], s[18:19], -v[190:191]
	v_add_f64 v[52:53], v[84:85], v[60:61]
	v_add_f64 v[54:55], v[90:91], v[62:63]
	;; [unrolled: 1-line block ×23, first 2 shown]
	v_mad_u32_u24 v4, 0xd0, v86, v87
	ds_store_b128 v4, v[60:63] offset:32
	ds_store_b128 v4, v[68:71] offset:48
	;; [unrolled: 1-line block ×6, first 2 shown]
	ds_store_b128 v4, v[52:55]
	ds_store_b128 v4, v[56:59] offset:16
	ds_store_b128 v4, v[108:111] offset:128
	;; [unrolled: 1-line block ×6, first 2 shown]
	v_cmpx_gt_u32_e32 12, v86
	s_cbranch_execz .LBB0_15
; %bb.14:
	s_clause 0x1
	scratch_load_b128 v[90:93], off, off offset:20
	scratch_load_b128 v[24:27], off, off offset:4
	v_dual_mov_b32 v205, v39 :: v_dual_mov_b32 v204, v38
	v_add_f64 v[8:9], v[38:39], v[34:35]
	v_dual_mov_b32 v203, v37 :: v_dual_mov_b32 v202, v36
	s_clause 0x3
	scratch_load_b128 v[36:39], off, off offset:84
	scratch_load_b128 v[82:85], off, off offset:36
	;; [unrolled: 1-line block ×4, first 2 shown]
	v_add_f64 v[18:19], v[204:205], -v[34:35]
	v_add_f64 v[66:67], v[202:203], -v[32:33]
	v_add_f64 v[60:61], v[50:51], v[30:31]
	v_add_f64 v[54:55], v[48:49], -v[28:29]
	v_add_f64 v[56:57], v[48:49], v[28:29]
	;; [unrolled: 2-line block ×3, first 2 shown]
	v_add_f64 v[58:59], v[46:47], v[42:43]
	v_add_f64 v[10:11], v[44:45], -v[40:41]
	v_add_f64 v[52:53], v[44:45], v[40:41]
	v_add_f64 v[62:63], v[46:47], -v[42:43]
	v_mov_b32_e32 v87, v250
	v_mul_f64 v[106:107], v[8:9], s[18:19]
	v_mul_f64 v[120:121], v[8:9], s[26:27]
	;; [unrolled: 1-line block ×18, first 2 shown]
	v_fma_f64 v[212:213], v[66:67], s[40:41], v[120:121]
	v_fma_f64 v[120:121], v[66:67], s[22:23], v[120:121]
	;; [unrolled: 1-line block ×5, first 2 shown]
	v_fma_f64 v[100:101], v[74:75], s[28:29], -v[100:101]
	v_fma_f64 v[206:207], v[74:75], s[18:19], v[114:115]
	v_fma_f64 v[114:115], v[74:75], s[18:19], -v[114:115]
	v_fma_f64 v[220:221], v[74:75], s[26:27], v[128:129]
	;; [unrolled: 2-line block ×4, first 2 shown]
	s_waitcnt vmcnt(5)
	v_add_f64 v[4:5], v[2:3], v[92:93]
	v_add_f64 v[6:7], v[0:1], v[90:91]
	s_waitcnt vmcnt(3)
	v_add_f64 v[12:13], v[26:27], v[38:39]
	s_waitcnt vmcnt(1)
	;; [unrolled: 2-line block ×3, first 2 shown]
	v_add_f64 v[22:23], v[92:93], -v[254:255]
	v_add_f64 v[16:17], v[92:93], v[254:255]
	v_add_f64 v[20:21], v[26:27], -v[38:39]
	v_add_f64 v[72:73], v[90:91], -v[252:253]
	v_add_f64 v[90:91], v[90:91], v[252:253]
	v_add_f64 v[68:69], v[24:25], -v[36:37]
	v_add_f64 v[70:71], v[82:83], -v[198:199]
	v_add_f64 v[80:81], v[24:25], v[36:37]
	v_mul_f64 v[92:93], v[8:9], s[28:29]
	v_mul_f64 v[8:9], v[8:9], s[34:35]
	v_add_f64 v[4:5], v[4:5], v[84:85]
	v_add_f64 v[6:7], v[6:7], v[82:83]
	v_add_f64 v[84:85], v[84:85], -v[200:201]
	v_add_f64 v[82:83], v[82:83], v[198:199]
	v_mul_f64 v[94:95], v[12:13], s[20:21]
	v_mul_f64 v[108:109], v[12:13], s[28:29]
	v_mul_f64 v[104:105], v[22:23], s[4:5]
	v_mul_f64 v[98:99], v[16:17], s[18:19]
	v_mul_f64 v[112:113], v[16:17], s[20:21]
	v_mul_f64 v[118:119], v[22:23], s[14:15]
	v_mul_f64 v[122:123], v[12:13], s[16:17]
	v_mul_f64 v[126:127], v[16:17], s[34:35]
	v_mul_f64 v[130:131], v[20:21], s[38:39]
	v_mul_f64 v[132:133], v[22:23], s[30:31]
	v_mul_f64 v[136:137], v[12:13], s[34:35]
	v_mul_f64 v[140:141], v[16:17], s[26:27]
	v_mul_f64 v[146:147], v[22:23], s[22:23]
	v_mul_f64 v[150:151], v[12:13], s[18:19]
	v_mul_f64 v[154:155], v[16:17], s[28:29]
	v_mul_f64 v[160:161], v[22:23], s[24:25]
	v_mul_f64 v[12:13], v[12:13], s[26:27]
	v_mul_f64 v[16:17], v[16:17], s[16:17]
	v_mul_f64 v[22:23], v[22:23], s[10:11]
	v_mul_f64 v[102:103], v[20:21], s[14:15]
	v_fma_f64 v[188:189], v[66:67], s[46:47], v[92:93]
	v_fma_f64 v[248:249], v[66:67], s[44:45], v[8:9]
	;; [unrolled: 1-line block ×3, first 2 shown]
	v_mul_f64 v[96:97], v[14:15], s[16:17]
	v_mul_f64 v[110:111], v[14:15], s[26:27]
	;; [unrolled: 1-line block ×8, first 2 shown]
	v_add_f64 v[4:5], v[4:5], v[26:27]
	v_add_f64 v[6:7], v[6:7], v[24:25]
	v_mul_f64 v[162:163], v[84:85], s[38:39]
	v_fma_f64 v[24:25], v[66:67], s[24:25], v[92:93]
	v_fma_f64 v[92:93], v[66:67], s[4:5], v[106:107]
	;; [unrolled: 1-line block ×3, first 2 shown]
	v_mul_f64 v[164:165], v[84:85], s[40:41]
	v_fma_f64 v[190:191], v[68:69], s[36:37], v[94:95]
	v_fma_f64 v[94:95], v[68:69], s[14:15], v[94:95]
	;; [unrolled: 1-line block ×5, first 2 shown]
	v_fma_f64 v[104:105], v[90:91], s[18:19], -v[104:105]
	v_fma_f64 v[26:27], v[68:69], s[46:47], v[108:109]
	v_fma_f64 v[210:211], v[90:91], s[20:21], v[118:119]
	;; [unrolled: 1-line block ×3, first 2 shown]
	v_fma_f64 v[118:119], v[90:91], s[20:21], -v[118:119]
	v_fma_f64 v[214:215], v[68:69], s[10:11], v[122:123]
	v_fma_f64 v[218:219], v[72:73], s[44:45], v[126:127]
	;; [unrolled: 1-line block ×9, first 2 shown]
	v_fma_f64 v[160:161], v[90:91], s[28:29], -v[160:161]
	v_fma_f64 v[230:231], v[72:73], s[38:39], v[16:17]
	v_fma_f64 v[232:233], v[90:91], s[16:17], v[22:23]
	;; [unrolled: 1-line block ×3, first 2 shown]
	v_fma_f64 v[22:23], v[90:91], s[16:17], -v[22:23]
	v_fma_f64 v[242:243], v[68:69], s[42:43], v[150:151]
	v_fma_f64 v[150:151], v[68:69], s[4:5], v[150:151]
	v_mul_f64 v[170:171], v[84:85], s[30:31]
	v_mul_f64 v[14:15], v[14:15], s[28:29]
	;; [unrolled: 1-line block ×5, first 2 shown]
	v_add_f64 v[4:5], v[4:5], v[204:205]
	v_add_f64 v[6:7], v[6:7], v[202:203]
	v_fma_f64 v[204:205], v[72:73], s[36:37], v[112:113]
	v_fma_f64 v[112:113], v[72:73], s[14:15], v[112:113]
	scratch_store_b64 off, v[24:25], off offset:4 ; 8-byte Folded Spill
	v_fma_f64 v[24:25], v[80:81], s[20:21], v[102:103]
	v_mul_f64 v[84:85], v[84:85], s[24:25]
	v_fma_f64 v[192:193], v[70:71], s[10:11], v[96:97]
	v_fma_f64 v[96:97], v[70:71], s[38:39], v[96:97]
	v_add_f64 v[196:197], v[0:1], v[196:197]
	v_fma_f64 v[202:203], v[70:71], s[22:23], v[110:111]
	v_fma_f64 v[110:111], v[70:71], s[40:41], v[110:111]
	;; [unrolled: 1-line block ×4, first 2 shown]
	v_add_f64 v[194:195], v[2:3], v[194:195]
	v_add_f64 v[98:99], v[2:3], v[98:99]
	;; [unrolled: 1-line block ×5, first 2 shown]
	v_fma_f64 v[102:103], v[80:81], s[20:21], -v[102:103]
	v_add_f64 v[224:225], v[0:1], v[224:225]
	v_fma_f64 v[208:209], v[80:81], s[28:29], v[116:117]
	v_fma_f64 v[116:117], v[80:81], s[28:29], -v[116:117]
	v_fma_f64 v[216:217], v[70:71], s[14:15], v[124:125]
	v_add_f64 v[228:229], v[0:1], v[228:229]
	v_add_f64 v[154:155], v[2:3], v[154:155]
	;; [unrolled: 1-line block ×3, first 2 shown]
	v_fma_f64 v[124:125], v[70:71], s[36:37], v[124:125]
	v_add_f64 v[232:233], v[0:1], v[232:233]
	v_fma_f64 v[238:239], v[80:81], s[34:35], v[144:145]
	v_fma_f64 v[144:145], v[80:81], s[34:35], -v[144:145]
	v_fma_f64 v[244:245], v[70:71], s[44:45], v[152:153]
	v_add_f64 v[218:219], v[2:3], v[218:219]
	v_add_f64 v[126:127], v[2:3], v[126:127]
	;; [unrolled: 1-line block ×6, first 2 shown]
	v_fma_f64 v[48:49], v[80:81], s[16:17], -v[130:131]
	v_fma_f64 v[50:51], v[90:91], s[34:35], -v[132:133]
	v_fma_f64 v[130:131], v[72:73], s[40:41], v[140:141]
	v_fma_f64 v[132:133], v[90:91], s[26:27], v[146:147]
	;; [unrolled: 1-line block ×3, first 2 shown]
	v_fma_f64 v[146:147], v[90:91], s[26:27], -v[146:147]
	v_fma_f64 v[72:73], v[66:67], s[10:11], v[134:135]
	v_fma_f64 v[90:91], v[68:69], s[30:31], v[136:137]
	;; [unrolled: 1-line block ×7, first 2 shown]
	v_fma_f64 v[162:163], v[82:83], s[16:17], -v[162:163]
	v_add_f64 v[204:205], v[2:3], v[204:205]
	v_add_f64 v[112:113], v[2:3], v[112:113]
	;; [unrolled: 1-line block ×4, first 2 shown]
	v_mul_f64 v[194:195], v[60:61], s[18:19]
	v_mul_f64 v[98:99], v[64:65], s[42:43]
	v_add_f64 v[216:217], v[216:217], v[218:219]
	v_add_f64 v[124:125], v[124:125], v[126:127]
	;; [unrolled: 1-line block ×3, first 2 shown]
	v_mul_f64 v[218:219], v[60:61], s[26:27]
	v_mul_f64 v[126:127], v[64:65], s[40:41]
	v_fma_f64 v[244:245], v[56:57], s[16:17], v[186:187]
	v_add_f64 v[4:5], v[4:5], v[46:47]
	v_add_f64 v[6:7], v[6:7], v[44:45]
	v_fma_f64 v[44:45], v[82:83], s[26:27], v[164:165]
	v_fma_f64 v[164:165], v[82:83], s[26:27], -v[164:165]
	v_add_f64 v[50:51], v[0:1], v[50:51]
	v_add_f64 v[132:133], v[0:1], v[132:133]
	;; [unrolled: 1-line block ×5, first 2 shown]
	v_fma_f64 v[22:23], v[70:71], s[30:31], v[152:153]
	v_fma_f64 v[46:47], v[80:81], s[18:19], v[158:159]
	v_fma_f64 v[152:153], v[74:75], s[20:21], -v[156:157]
	v_fma_f64 v[156:157], v[80:81], s[18:19], -v[158:159]
	v_fma_f64 v[158:159], v[70:71], s[46:47], v[14:15]
	v_add_f64 v[68:69], v[68:69], v[196:197]
	v_fma_f64 v[14:15], v[70:71], s[24:25], v[14:15]
	v_fma_f64 v[70:71], v[74:75], s[34:35], v[18:19]
	v_fma_f64 v[18:19], v[74:75], s[34:35], -v[18:19]
	v_fma_f64 v[74:75], v[80:81], s[26:27], v[20:21]
	v_fma_f64 v[20:21], v[80:81], s[26:27], -v[20:21]
	;; [unrolled: 2-line block ×3, first 2 shown]
	v_add_f64 v[130:131], v[2:3], v[130:131]
	v_add_f64 v[2:3], v[2:3], v[16:17]
	v_fma_f64 v[16:17], v[82:83], s[20:21], v[166:167]
	v_fma_f64 v[166:167], v[82:83], s[20:21], -v[166:167]
	v_add_f64 v[104:105], v[162:163], v[104:105]
	v_add_f64 v[202:203], v[202:203], v[204:205]
	;; [unrolled: 1-line block ×3, first 2 shown]
	v_mul_f64 v[204:205], v[60:61], s[28:29]
	v_mul_f64 v[112:113], v[64:65], s[24:25]
	;; [unrolled: 1-line block ×3, first 2 shown]
	v_add_f64 v[190:191], v[190:191], v[192:193]
	v_mul_f64 v[64:65], v[64:65], s[14:15]
	v_mul_f64 v[162:163], v[58:59], s[20:21]
	;; [unrolled: 1-line block ×3, first 2 shown]
	v_add_f64 v[4:5], v[4:5], v[42:43]
	v_fma_f64 v[42:43], v[82:83], s[34:35], -v[170:171]
	v_add_f64 v[6:7], v[6:7], v[40:41]
	v_fma_f64 v[40:41], v[82:83], s[34:35], v[170:171]
	v_fma_f64 v[170:171], v[82:83], s[28:29], v[84:85]
	v_fma_f64 v[82:83], v[82:83], s[28:29], -v[84:85]
	v_add_f64 v[118:119], v[164:165], v[118:119]
	v_add_f64 v[138:139], v[138:139], v[140:141]
	;; [unrolled: 1-line block ×4, first 2 shown]
	v_mul_f64 v[84:85], v[58:59], s[28:29]
	v_mul_f64 v[164:165], v[58:59], s[16:17]
	v_mul_f64 v[58:59], v[58:59], s[18:19]
	v_add_f64 v[158:159], v[158:159], v[230:231]
	v_fma_f64 v[230:231], v[54:55], s[38:39], v[182:183]
	v_mul_f64 v[210:211], v[62:63], s[14:15]
	v_fma_f64 v[154:155], v[10:11], s[44:45], v[180:181]
	v_fma_f64 v[140:141], v[52:53], s[26:27], v[176:177]
	v_fma_f64 v[176:177], v[52:53], s[26:27], -v[176:177]
	v_add_f64 v[80:81], v[80:81], v[132:133]
	v_add_f64 v[146:147], v[168:169], v[146:147]
	;; [unrolled: 1-line block ×6, first 2 shown]
	v_mul_f64 v[224:225], v[62:63], s[38:39]
	v_fma_f64 v[234:235], v[54:55], s[44:45], v[174:175]
	v_fma_f64 v[174:175], v[54:55], s[30:31], v[174:175]
	;; [unrolled: 1-line block ×3, first 2 shown]
	v_fma_f64 v[178:179], v[56:57], s[34:35], -v[178:179]
	v_mul_f64 v[62:63], v[62:63], s[4:5]
	v_fma_f64 v[166:167], v[10:11], s[22:23], v[172:173]
	v_fma_f64 v[172:173], v[10:11], s[40:41], v[172:173]
	v_fma_f64 v[132:133], v[52:53], s[34:35], v[184:185]
	v_add_f64 v[4:5], v[4:5], v[30:31]
	v_add_f64 v[30:31], v[24:25], v[68:69]
	scratch_load_b64 v[24:25], off, off offset:4 ; 8-byte Folded Reload
	v_add_f64 v[42:43], v[42:43], v[160:161]
	v_add_f64 v[40:41], v[40:41], v[228:229]
	;; [unrolled: 1-line block ×15, first 2 shown]
	v_fma_f64 v[160:161], v[54:55], s[10:11], v[182:183]
	v_fma_f64 v[182:183], v[54:55], s[4:5], v[194:195]
	v_add_f64 v[80:81], v[238:239], v[80:81]
	v_add_f64 v[118:119], v[144:145], v[146:147]
	v_fma_f64 v[194:195], v[54:55], s[42:43], v[194:195]
	v_add_f64 v[2:3], v[12:13], v[2:3]
	v_add_f64 v[16:17], v[222:223], v[16:17]
	v_add_f64 v[48:49], v[48:49], v[50:51]
	v_add_f64 v[50:51], v[90:91], v[130:131]
	v_add_f64 v[90:91], v[242:243], v[226:227]
	v_fma_f64 v[122:123], v[56:57], s[26:27], -v[126:127]
	v_fma_f64 v[124:125], v[54:55], s[36:37], v[60:61]
	v_fma_f64 v[170:171], v[56:57], s[16:17], -v[186:187]
	v_fma_f64 v[186:187], v[56:57], s[18:19], v[98:99]
	v_fma_f64 v[98:99], v[56:57], s[18:19], -v[98:99]
	v_fma_f64 v[228:229], v[10:11], s[30:31], v[180:181]
	v_fma_f64 v[180:181], v[10:11], s[24:25], v[84:85]
	v_fma_f64 v[84:85], v[10:11], s[46:47], v[84:85]
	v_fma_f64 v[82:83], v[52:53], s[34:35], -v[184:185]
	v_fma_f64 v[184:185], v[52:53], s[28:29], v[196:197]
	v_add_f64 v[4:5], v[4:5], v[34:35]
	v_fma_f64 v[34:35], v[56:57], s[28:29], -v[112:113]
	v_add_f64 v[28:29], v[250:251], v[30:31]
	v_add_f64 v[42:43], v[156:157], v[42:43]
	;; [unrolled: 1-line block ×7, first 2 shown]
	v_fma_f64 v[14:15], v[54:55], s[46:47], v[204:205]
	v_fma_f64 v[20:21], v[56:57], s[28:29], v[112:113]
	;; [unrolled: 1-line block ×6, first 2 shown]
	v_add_f64 v[30:31], v[188:189], v[68:69]
	v_add_f64 v[68:69], v[92:93], v[96:97]
	v_add_f64 v[92:93], v[106:107], v[102:103]
	v_add_f64 v[102:103], v[134:135], v[116:117]
	v_add_f64 v[22:23], v[148:149], v[22:23]
	v_fma_f64 v[74:75], v[56:57], s[26:27], v[126:127]
	v_fma_f64 v[126:127], v[56:57], s[20:21], v[64:65]
	v_fma_f64 v[56:57], v[56:57], s[20:21], -v[64:65]
	v_add_f64 v[64:65], v[100:101], v[94:95]
	v_add_f64 v[94:95], v[114:115], v[104:105]
	;; [unrolled: 1-line block ×12, first 2 shown]
	v_fma_f64 v[106:107], v[10:11], s[10:11], v[164:165]
	v_fma_f64 v[110:111], v[10:11], s[38:39], v[164:165]
	v_fma_f64 v[114:115], v[52:53], s[16:17], -v[224:225]
	v_add_f64 v[4:5], v[4:5], v[38:39]
	v_fma_f64 v[116:117], v[10:11], s[42:43], v[58:59]
	v_fma_f64 v[58:59], v[10:11], s[4:5], v[58:59]
	v_add_f64 v[42:43], v[152:153], v[42:43]
	v_add_f64 v[40:41], v[246:247], v[40:41]
	;; [unrolled: 1-line block ×6, first 2 shown]
	v_fma_f64 v[18:19], v[10:11], s[36:37], v[162:163]
	v_fma_f64 v[90:91], v[52:53], s[20:21], -v[210:211]
	v_add_f64 v[12:13], v[168:169], v[28:29]
	v_fma_f64 v[196:197], v[52:53], s[28:29], -v[196:197]
	v_fma_f64 v[70:71], v[52:53], s[20:21], v[210:211]
	v_fma_f64 v[108:109], v[52:53], s[16:17], v[224:225]
	v_add_f64 v[26:27], v[174:175], v[30:31]
	v_add_f64 v[30:31], v[160:161], v[68:69]
	;; [unrolled: 1-line block ×5, first 2 shown]
	v_fma_f64 v[118:119], v[52:53], s[18:19], v[62:63]
	v_fma_f64 v[52:53], v[52:53], s[18:19], -v[62:63]
	v_mov_b32_e32 v250, v87
	v_add_f64 v[28:29], v[178:179], v[64:65]
	v_add_f64 v[92:93], v[34:35], v[104:105]
	;; [unrolled: 1-line block ×33, first 2 shown]
	s_waitcnt vmcnt(0)
	v_add_f64 v[60:61], v[24:25], v[190:191]
	v_fma_f64 v[24:25], v[10:11], s[14:15], v[162:163]
	s_delay_alu instid0(VALU_DEP_2) | instskip(SKIP_3) | instid1(VALU_DEP_4)
	v_add_f64 v[10:11], v[234:235], v[60:61]
	v_add_f64 v[60:61], v[170:171], v[94:95]
	;; [unrolled: 1-line block ×13, first 2 shown]
	v_mul_i32_i24_e32 v52, 0xd0, v89
	s_delay_alu instid0(VALU_DEP_1)
	v_add3_u32 v52, 0, v52, v250
	ds_store_b128 v52, v[32:35] offset:32
	ds_store_b128 v52, v[28:31] offset:48
	;; [unrolled: 1-line block ×11, first 2 shown]
	ds_store_b128 v52, v[16:19]
	ds_store_b128 v52, v[44:47] offset:192
.LBB0_15:
	s_or_b32 exec_lo, exec_lo, s1
	v_dual_mov_b32 v16, 0 :: v_dual_lshlrev_b32 v15, 2, v86
	s_waitcnt lgkmcnt(0)
	s_waitcnt_vscnt null, 0x0
	s_barrier
	buffer_gl0_inv
	v_add_nc_u32_e32 v92, 26, v86
	v_lshlrev_b64 v[0:1], 4, v[15:16]
	v_add_nc_u32_e32 v93, 39, v86
	v_add_nc_u32_e32 v94, 52, v86
	s_mov_b32 s14, 0x134454ff
	s_mov_b32 s15, 0x3fee6f0e
	;; [unrolled: 1-line block ×3, first 2 shown]
	v_add_co_u32 v17, s0, s8, v0
	s_delay_alu instid0(VALU_DEP_1)
	v_add_co_ci_u32_e64 v18, s0, s9, v1, s0
	s_mov_b32 s16, s14
	s_mov_b32 s4, 0x4755a5e
	s_clause 0x1
	global_load_b128 v[4:7], v[17:18], off
	global_load_b128 v[0:3], v[17:18], off offset:16
	ds_load_b128 v[12:15], v88 offset:1040
	ds_load_b128 v[8:11], v88 offset:1248
	;; [unrolled: 1-line block ×4, first 2 shown]
	s_mov_b32 s5, 0x3fe2cf23
	s_mov_b32 s11, 0xbfe2cf23
	s_mov_b32 s10, s4
	s_mov_b32 s18, 0x372fe950
	s_mov_b32 s19, 0x3fd3c6ef
	s_waitcnt vmcnt(1) lgkmcnt(3)
	v_mul_f64 v[23:24], v[14:15], v[6:7]
	v_mul_f64 v[25:26], v[12:13], v[6:7]
	s_waitcnt lgkmcnt(2)
	v_mul_f64 v[27:28], v[10:11], v[6:7]
	v_mul_f64 v[6:7], v[8:9], v[6:7]
	s_waitcnt vmcnt(0) lgkmcnt(1)
	v_mul_f64 v[29:30], v[21:22], v[2:3]
	v_fma_f64 v[69:70], v[12:13], v[4:5], -v[23:24]
	v_fma_f64 v[67:68], v[14:15], v[4:5], v[25:26]
	v_fma_f64 v[41:42], v[8:9], v[4:5], -v[27:28]
	v_fma_f64 v[39:40], v[10:11], v[4:5], v[6:7]
	ds_load_b128 v[4:7], v88 offset:2288
	ds_load_b128 v[8:11], v88 offset:2496
	v_mul_f64 v[12:13], v[19:20], v[2:3]
	v_fma_f64 v[73:74], v[19:20], v[0:1], -v[29:30]
	s_waitcnt lgkmcnt(1)
	v_mul_f64 v[14:15], v[6:7], v[2:3]
	v_mul_f64 v[2:3], v[4:5], v[2:3]
	s_delay_alu instid0(VALU_DEP_4) | instskip(NEXT) | instid1(VALU_DEP_4)
	v_fma_f64 v[71:72], v[21:22], v[0:1], v[12:13]
	v_add_f64 v[126:127], v[73:74], -v[69:70]
	s_delay_alu instid0(VALU_DEP_4) | instskip(NEXT) | instid1(VALU_DEP_4)
	v_fma_f64 v[57:58], v[4:5], v[0:1], -v[14:15]
	v_fma_f64 v[51:52], v[6:7], v[0:1], v[2:3]
	s_clause 0x1
	global_load_b128 v[0:3], v[17:18], off offset:32
	global_load_b128 v[4:7], v[17:18], off offset:48
	ds_load_b128 v[12:15], v88 offset:3120
	ds_load_b128 v[19:22], v88 offset:3328
	v_add_f64 v[130:131], v[57:58], -v[41:42]
	s_waitcnt vmcnt(1) lgkmcnt(1)
	v_mul_f64 v[23:24], v[14:15], v[2:3]
	s_delay_alu instid0(VALU_DEP_1) | instskip(SKIP_1) | instid1(VALU_DEP_2)
	v_fma_f64 v[82:83], v[12:13], v[0:1], -v[23:24]
	v_mul_f64 v[12:13], v[12:13], v[2:3]
	v_add_f64 v[124:125], v[73:74], -v[82:83]
	s_delay_alu instid0(VALU_DEP_2) | instskip(SKIP_3) | instid1(VALU_DEP_3)
	v_fma_f64 v[80:81], v[14:15], v[0:1], v[12:13]
	s_waitcnt lgkmcnt(0)
	v_mul_f64 v[12:13], v[21:22], v[2:3]
	v_mul_f64 v[2:3], v[19:20], v[2:3]
	v_add_f64 v[120:121], v[71:72], -v[80:81]
	s_delay_alu instid0(VALU_DEP_3) | instskip(NEXT) | instid1(VALU_DEP_3)
	v_fma_f64 v[61:62], v[19:20], v[0:1], -v[12:13]
	v_fma_f64 v[59:60], v[21:22], v[0:1], v[2:3]
	ds_load_b128 v[0:3], v88 offset:4160
	ds_load_b128 v[12:15], v88 offset:3952
	s_waitcnt vmcnt(0) lgkmcnt(1)
	v_mul_f64 v[19:20], v[0:1], v[6:7]
	v_add_f64 v[128:129], v[57:58], -v[61:62]
	s_delay_alu instid0(VALU_DEP_2) | instskip(SKIP_1) | instid1(VALU_DEP_2)
	v_fma_f64 v[84:85], v[2:3], v[4:5], v[19:20]
	v_mul_f64 v[2:3], v[2:3], v[6:7]
	v_add_f64 v[118:119], v[67:68], -v[84:85]
	s_delay_alu instid0(VALU_DEP_2)
	v_fma_f64 v[90:91], v[0:1], v[4:5], -v[2:3]
	ds_load_b128 v[0:3], v88 offset:4368
	ds_load_b128 v[19:22], v88 offset:4576
	s_waitcnt lgkmcnt(1)
	v_mul_f64 v[23:24], v[2:3], v[6:7]
	v_add_f64 v[122:123], v[69:70], -v[90:91]
	s_delay_alu instid0(VALU_DEP_2) | instskip(SKIP_1) | instid1(VALU_DEP_1)
	v_fma_f64 v[63:64], v[0:1], v[4:5], -v[23:24]
	v_mul_f64 v[0:1], v[0:1], v[6:7]
	v_fma_f64 v[65:66], v[2:3], v[4:5], v[0:1]
	v_and_b32_e32 v0, 0xff, v92
	s_delay_alu instid0(VALU_DEP_1) | instskip(NEXT) | instid1(VALU_DEP_1)
	v_mul_lo_u16 v0, 0x4f, v0
	v_lshrrev_b16 v0, 10, v0
	s_delay_alu instid0(VALU_DEP_1) | instskip(NEXT) | instid1(VALU_DEP_1)
	v_mul_lo_u16 v0, v0, 13
	v_sub_nc_u16 v0, v92, v0
	s_delay_alu instid0(VALU_DEP_1) | instskip(NEXT) | instid1(VALU_DEP_1)
	v_and_b32_e32 v97, 0xff, v0
	v_lshlrev_b32_e32 v33, 6, v97
	s_clause 0x1
	global_load_b128 v[0:3], v33, s[8:9]
	global_load_b128 v[4:7], v33, s[8:9] offset:16
	ds_load_b128 v[23:26], v88 offset:1456
	ds_load_b128 v[27:30], v88 offset:1664
	s_waitcnt vmcnt(1) lgkmcnt(1)
	v_mul_f64 v[31:32], v[25:26], v[2:3]
	v_mul_f64 v[2:3], v[23:24], v[2:3]
	s_delay_alu instid0(VALU_DEP_2) | instskip(NEXT) | instid1(VALU_DEP_2)
	v_fma_f64 v[37:38], v[23:24], v[0:1], -v[31:32]
	v_fma_f64 v[35:36], v[25:26], v[0:1], v[2:3]
	s_waitcnt vmcnt(0)
	v_mul_f64 v[0:1], v[10:11], v[6:7]
	s_delay_alu instid0(VALU_DEP_1) | instskip(SKIP_1) | instid1(VALU_DEP_1)
	v_fma_f64 v[43:44], v[8:9], v[4:5], -v[0:1]
	v_mul_f64 v[0:1], v[8:9], v[6:7]
	v_fma_f64 v[45:46], v[10:11], v[4:5], v[0:1]
	s_clause 0x1
	global_load_b128 v[0:3], v33, s[8:9] offset:32
	global_load_b128 v[4:7], v33, s[8:9] offset:48
	ds_load_b128 v[8:11], v88 offset:3536
	ds_load_b128 v[31:34], v88 offset:3744
	s_waitcnt vmcnt(1) lgkmcnt(1)
	v_mul_f64 v[23:24], v[10:11], v[2:3]
	v_mul_f64 v[2:3], v[8:9], v[2:3]
	s_delay_alu instid0(VALU_DEP_2) | instskip(NEXT) | instid1(VALU_DEP_2)
	v_fma_f64 v[49:50], v[8:9], v[0:1], -v[23:24]
	v_fma_f64 v[47:48], v[10:11], v[0:1], v[2:3]
	s_waitcnt vmcnt(0)
	v_mul_f64 v[0:1], v[21:22], v[6:7]
	s_delay_alu instid0(VALU_DEP_1) | instskip(SKIP_1) | instid1(VALU_DEP_2)
	v_fma_f64 v[53:54], v[19:20], v[4:5], -v[0:1]
	v_mul_f64 v[0:1], v[19:20], v[6:7]
	v_add_f64 v[132:133], v[37:38], -v[53:54]
	s_delay_alu instid0(VALU_DEP_2) | instskip(SKIP_1) | instid1(VALU_DEP_1)
	v_fma_f64 v[55:56], v[21:22], v[4:5], v[0:1]
	v_and_b32_e32 v0, 0xff, v93
	v_mul_lo_u16 v0, 0x4f, v0
	s_delay_alu instid0(VALU_DEP_1) | instskip(NEXT) | instid1(VALU_DEP_1)
	v_lshrrev_b16 v0, 10, v0
	v_mul_lo_u16 v0, v0, 13
	s_delay_alu instid0(VALU_DEP_1) | instskip(NEXT) | instid1(VALU_DEP_1)
	v_sub_nc_u16 v0, v93, v0
	v_and_b32_e32 v96, 0xff, v0
	s_delay_alu instid0(VALU_DEP_1)
	v_lshlrev_b32_e32 v75, 6, v96
	s_clause 0x1
	global_load_b128 v[0:3], v75, s[8:9]
	global_load_b128 v[4:7], v75, s[8:9] offset:16
	s_waitcnt vmcnt(1)
	v_mul_f64 v[8:9], v[29:30], v[2:3]
	v_mul_f64 v[2:3], v[27:28], v[2:3]
	s_delay_alu instid0(VALU_DEP_2) | instskip(NEXT) | instid1(VALU_DEP_2)
	v_fma_f64 v[19:20], v[27:28], v[0:1], -v[8:9]
	v_fma_f64 v[21:22], v[29:30], v[0:1], v[2:3]
	ds_load_b128 v[0:3], v88 offset:2704
	ds_load_b128 v[8:11], v88 offset:2912
	s_waitcnt vmcnt(0) lgkmcnt(1)
	v_mul_f64 v[23:24], v[2:3], v[6:7]
	s_delay_alu instid0(VALU_DEP_1) | instskip(SKIP_1) | instid1(VALU_DEP_1)
	v_fma_f64 v[23:24], v[0:1], v[4:5], -v[23:24]
	v_mul_f64 v[0:1], v[0:1], v[6:7]
	v_fma_f64 v[25:26], v[2:3], v[4:5], v[0:1]
	s_clause 0x1
	global_load_b128 v[0:3], v75, s[8:9] offset:32
	global_load_b128 v[4:7], v75, s[8:9] offset:48
	s_waitcnt vmcnt(1)
	v_mul_f64 v[27:28], v[33:34], v[2:3]
	v_mul_f64 v[2:3], v[31:32], v[2:3]
	s_delay_alu instid0(VALU_DEP_2) | instskip(NEXT) | instid1(VALU_DEP_2)
	v_fma_f64 v[27:28], v[31:32], v[0:1], -v[27:28]
	v_fma_f64 v[29:30], v[33:34], v[0:1], v[2:3]
	ds_load_b128 v[0:3], v88 offset:4784
	ds_load_b128 v[102:105], v88 offset:4992
	s_waitcnt vmcnt(0) lgkmcnt(1)
	v_mul_f64 v[31:32], v[2:3], v[6:7]
	s_delay_alu instid0(VALU_DEP_1) | instskip(SKIP_1) | instid1(VALU_DEP_1)
	v_fma_f64 v[31:32], v[0:1], v[4:5], -v[31:32]
	v_mul_f64 v[0:1], v[0:1], v[6:7]
	v_fma_f64 v[33:34], v[2:3], v[4:5], v[0:1]
	v_and_b32_e32 v0, 0xff, v94
	s_delay_alu instid0(VALU_DEP_1) | instskip(NEXT) | instid1(VALU_DEP_1)
	v_mul_lo_u16 v0, 0x4f, v0
	v_lshrrev_b16 v0, 10, v0
	s_delay_alu instid0(VALU_DEP_1) | instskip(NEXT) | instid1(VALU_DEP_1)
	v_mul_lo_u16 v0, v0, 13
	v_sub_nc_u16 v0, v94, v0
	s_delay_alu instid0(VALU_DEP_1) | instskip(NEXT) | instid1(VALU_DEP_1)
	v_and_b32_e32 v95, 0xff, v0
	v_lshlrev_b32_e32 v75, 6, v95
	s_clause 0x1
	global_load_b128 v[4:7], v75, s[8:9]
	global_load_b128 v[106:109], v75, s[8:9] offset:16
	s_waitcnt vmcnt(1)
	v_mul_f64 v[0:1], v[100:101], v[6:7]
	s_delay_alu instid0(VALU_DEP_1) | instskip(SKIP_3) | instid1(VALU_DEP_2)
	v_fma_f64 v[2:3], v[98:99], v[4:5], -v[0:1]
	v_mul_f64 v[0:1], v[98:99], v[6:7]
	s_waitcnt vmcnt(0)
	v_mul_f64 v[6:7], v[8:9], v[108:109]
	v_fma_f64 v[0:1], v[100:101], v[4:5], v[0:1]
	v_mul_f64 v[4:5], v[10:11], v[108:109]
	s_delay_alu instid0(VALU_DEP_3) | instskip(NEXT) | instid1(VALU_DEP_2)
	v_fma_f64 v[6:7], v[10:11], v[106:107], v[6:7]
	v_fma_f64 v[4:5], v[8:9], v[106:107], -v[4:5]
	s_clause 0x1
	global_load_b128 v[98:101], v75, s[8:9] offset:32
	global_load_b128 v[106:109], v75, s[8:9] offset:48
	scratch_load_b32 v87, off, off          ; 4-byte Folded Reload
	v_lshlrev_b32_e32 v75, 4, v89
	s_delay_alu instid0(VALU_DEP_1) | instskip(SKIP_2) | instid1(VALU_DEP_1)
	v_add3_u32 v75, 0, v75, v250
	s_waitcnt vmcnt(2)
	v_mul_f64 v[8:9], v[14:15], v[100:101]
	v_fma_f64 v[10:11], v[12:13], v[98:99], -v[8:9]
	v_mul_f64 v[8:9], v[12:13], v[100:101]
	v_add_f64 v[100:101], v[90:91], -v[82:83]
	s_waitcnt vmcnt(1) lgkmcnt(0)
	v_mul_f64 v[12:13], v[104:105], v[108:109]
	s_delay_alu instid0(VALU_DEP_3) | instskip(SKIP_2) | instid1(VALU_DEP_4)
	v_fma_f64 v[8:9], v[14:15], v[98:99], v[8:9]
	v_add_f64 v[98:99], v[69:70], -v[73:74]
	v_mul_f64 v[14:15], v[102:103], v[108:109]
	v_fma_f64 v[12:13], v[102:103], v[106:107], -v[12:13]
	s_delay_alu instid0(VALU_DEP_3) | instskip(SKIP_4) | instid1(VALU_DEP_3)
	v_add_f64 v[110:111], v[98:99], v[100:101]
	v_add_f64 v[98:99], v[67:68], -v[71:72]
	v_add_f64 v[100:101], v[84:85], -v[80:81]
	v_fma_f64 v[14:15], v[104:105], v[106:107], v[14:15]
	v_add_f64 v[106:107], v[73:74], v[82:83]
	v_add_f64 v[112:113], v[98:99], v[100:101]
	s_waitcnt vmcnt(0)
	ds_load_b128 v[98:101], v87
	ds_load_b128 v[102:105], v88 offset:416
	s_waitcnt lgkmcnt(1)
	v_fma_f64 v[114:115], v[106:107], -0.5, v[98:99]
	v_add_f64 v[106:107], v[71:72], v[80:81]
	s_delay_alu instid0(VALU_DEP_1) | instskip(NEXT) | instid1(VALU_DEP_3)
	v_fma_f64 v[116:117], v[106:107], -0.5, v[100:101]
	v_fma_f64 v[106:107], v[118:119], s[14:15], v[114:115]
	v_fma_f64 v[114:115], v[118:119], s[16:17], v[114:115]
	s_delay_alu instid0(VALU_DEP_3) | instskip(SKIP_1) | instid1(VALU_DEP_4)
	v_fma_f64 v[108:109], v[122:123], s[16:17], v[116:117]
	v_fma_f64 v[116:117], v[122:123], s[14:15], v[116:117]
	;; [unrolled: 1-line block ×3, first 2 shown]
	s_delay_alu instid0(VALU_DEP_4) | instskip(NEXT) | instid1(VALU_DEP_4)
	v_fma_f64 v[114:115], v[120:121], s[10:11], v[114:115]
	v_fma_f64 v[108:109], v[124:125], s[10:11], v[108:109]
	s_delay_alu instid0(VALU_DEP_4) | instskip(NEXT) | instid1(VALU_DEP_4)
	v_fma_f64 v[116:117], v[124:125], s[4:5], v[116:117]
	v_fma_f64 v[106:107], v[110:111], s[18:19], v[106:107]
	s_delay_alu instid0(VALU_DEP_4) | instskip(SKIP_4) | instid1(VALU_DEP_4)
	v_fma_f64 v[110:111], v[110:111], s[18:19], v[114:115]
	v_add_f64 v[114:115], v[69:70], v[90:91]
	v_fma_f64 v[108:109], v[112:113], s[18:19], v[108:109]
	v_fma_f64 v[112:113], v[112:113], s[18:19], v[116:117]
	v_add_f64 v[116:117], v[67:68], v[84:85]
	v_fma_f64 v[114:115], v[114:115], -0.5, v[98:99]
	v_add_f64 v[98:99], v[98:99], v[69:70]
	s_delay_alu instid0(VALU_DEP_3) | instskip(SKIP_1) | instid1(VALU_DEP_3)
	v_fma_f64 v[116:117], v[116:117], -0.5, v[100:101]
	v_add_f64 v[100:101], v[100:101], v[67:68]
	v_add_f64 v[69:70], v[98:99], v[73:74]
	s_delay_alu instid0(VALU_DEP_3) | instskip(NEXT) | instid1(VALU_DEP_3)
	v_fma_f64 v[98:99], v[124:125], s[16:17], v[116:117]
	v_add_f64 v[73:74], v[100:101], v[71:72]
	v_add_f64 v[71:72], v[71:72], -v[67:68]
	s_delay_alu instid0(VALU_DEP_4) | instskip(NEXT) | instid1(VALU_DEP_3)
	v_add_f64 v[67:68], v[69:70], v[82:83]
	v_add_f64 v[69:70], v[73:74], v[80:81]
	v_add_f64 v[73:74], v[82:83], -v[90:91]
	s_delay_alu instid0(VALU_DEP_3)
	v_add_f64 v[67:68], v[67:68], v[90:91]
	v_add_f64 v[80:81], v[80:81], -v[84:85]
	v_fma_f64 v[90:91], v[124:125], s[14:15], v[116:117]
	v_fma_f64 v[82:83], v[120:121], s[16:17], v[114:115]
	v_add_f64 v[124:125], v[51:52], -v[59:60]
	v_add_f64 v[69:70], v[69:70], v[84:85]
	v_fma_f64 v[84:85], v[120:121], s[14:15], v[114:115]
	v_add_f64 v[100:101], v[126:127], v[73:74]
	v_add_f64 v[114:115], v[71:72], v[80:81]
	v_fma_f64 v[73:74], v[122:123], s[10:11], v[90:91]
	v_add_f64 v[90:91], v[63:64], -v[61:62]
	v_fma_f64 v[71:72], v[118:119], s[4:5], v[82:83]
	v_fma_f64 v[82:83], v[122:123], s[4:5], v[98:99]
	v_add_f64 v[98:99], v[65:66], -v[59:60]
	v_add_f64 v[122:123], v[39:40], -v[65:66]
	;; [unrolled: 1-line block ×3, first 2 shown]
	v_fma_f64 v[80:81], v[118:119], s[10:11], v[84:85]
	v_add_f64 v[84:85], v[41:42], -v[57:58]
	v_fma_f64 v[73:74], v[114:115], s[18:19], v[73:74]
	v_fma_f64 v[71:72], v[100:101], s[18:19], v[71:72]
	;; [unrolled: 1-line block ×3, first 2 shown]
	v_add_f64 v[114:115], v[57:58], v[61:62]
	v_fma_f64 v[80:81], v[100:101], s[18:19], v[80:81]
	v_add_f64 v[84:85], v[84:85], v[90:91]
	v_add_f64 v[90:91], v[39:40], -v[51:52]
	s_delay_alu instid0(VALU_DEP_1) | instskip(SKIP_4) | instid1(VALU_DEP_1)
	v_add_f64 v[90:91], v[90:91], v[98:99]
	ds_load_b128 v[98:101], v75
	s_waitcnt lgkmcnt(0)
	v_fma_f64 v[118:119], v[114:115], -0.5, v[98:99]
	v_add_f64 v[114:115], v[51:52], v[59:60]
	v_fma_f64 v[120:121], v[114:115], -0.5, v[100:101]
	s_delay_alu instid0(VALU_DEP_3) | instskip(SKIP_1) | instid1(VALU_DEP_3)
	v_fma_f64 v[114:115], v[122:123], s[14:15], v[118:119]
	v_fma_f64 v[118:119], v[122:123], s[16:17], v[118:119]
	;; [unrolled: 1-line block ×4, first 2 shown]
	s_delay_alu instid0(VALU_DEP_4) | instskip(NEXT) | instid1(VALU_DEP_4)
	v_fma_f64 v[114:115], v[124:125], s[4:5], v[114:115]
	v_fma_f64 v[118:119], v[124:125], s[10:11], v[118:119]
	s_delay_alu instid0(VALU_DEP_4) | instskip(NEXT) | instid1(VALU_DEP_4)
	v_fma_f64 v[116:117], v[128:129], s[10:11], v[116:117]
	v_fma_f64 v[120:121], v[128:129], s[4:5], v[120:121]
	;; [unrolled: 3-line block ×3, first 2 shown]
	v_add_f64 v[84:85], v[41:42], v[63:64]
	v_fma_f64 v[116:117], v[90:91], s[18:19], v[116:117]
	v_fma_f64 v[120:121], v[90:91], s[18:19], v[120:121]
	v_add_f64 v[90:91], v[39:40], v[65:66]
	s_delay_alu instid0(VALU_DEP_4) | instskip(SKIP_1) | instid1(VALU_DEP_3)
	v_fma_f64 v[84:85], v[84:85], -0.5, v[98:99]
	v_add_f64 v[98:99], v[98:99], v[41:42]
	v_fma_f64 v[90:91], v[90:91], -0.5, v[100:101]
	v_add_f64 v[100:101], v[100:101], v[39:40]
	s_delay_alu instid0(VALU_DEP_3) | instskip(NEXT) | instid1(VALU_DEP_2)
	v_add_f64 v[41:42], v[98:99], v[57:58]
	v_add_f64 v[57:58], v[100:101], v[51:52]
	v_add_f64 v[51:52], v[51:52], -v[39:40]
	s_delay_alu instid0(VALU_DEP_3) | instskip(NEXT) | instid1(VALU_DEP_3)
	v_add_f64 v[39:40], v[41:42], v[61:62]
	v_add_f64 v[41:42], v[57:58], v[59:60]
	v_add_f64 v[57:58], v[61:62], -v[63:64]
	s_delay_alu instid0(VALU_DEP_3)
	v_add_f64 v[39:40], v[39:40], v[63:64]
	v_add_f64 v[59:60], v[59:60], -v[65:66]
	v_fma_f64 v[61:62], v[124:125], s[16:17], v[84:85]
	v_fma_f64 v[63:64], v[124:125], s[14:15], v[84:85]
	;; [unrolled: 1-line block ×3, first 2 shown]
	v_add_f64 v[41:42], v[41:42], v[65:66]
	v_fma_f64 v[65:66], v[128:129], s[14:15], v[90:91]
	v_add_f64 v[90:91], v[130:131], v[57:58]
	v_add_f64 v[51:52], v[51:52], v[59:60]
	v_fma_f64 v[57:58], v[122:123], s[4:5], v[61:62]
	v_fma_f64 v[61:62], v[122:123], s[10:11], v[63:64]
	;; [unrolled: 1-line block ×3, first 2 shown]
	v_add_f64 v[84:85], v[47:48], -v[55:56]
	v_add_f64 v[130:131], v[43:44], -v[49:50]
	;; [unrolled: 1-line block ×3, first 2 shown]
	v_fma_f64 v[59:60], v[126:127], s[10:11], v[65:66]
	v_add_f64 v[65:66], v[49:50], -v[53:54]
	v_add_f64 v[126:127], v[45:46], -v[47:48]
	v_fma_f64 v[57:58], v[90:91], s[18:19], v[57:58]
	v_fma_f64 v[61:62], v[90:91], s[18:19], v[61:62]
	;; [unrolled: 1-line block ×3, first 2 shown]
	v_add_f64 v[90:91], v[35:36], v[55:56]
	v_fma_f64 v[59:60], v[51:52], s[18:19], v[59:60]
	v_add_f64 v[51:52], v[43:44], -v[37:38]
	s_delay_alu instid0(VALU_DEP_3) | instskip(NEXT) | instid1(VALU_DEP_2)
	v_fma_f64 v[90:91], v[90:91], -0.5, v[104:105]
	v_add_f64 v[51:52], v[51:52], v[65:66]
	v_add_f64 v[65:66], v[45:46], -v[35:36]
	s_delay_alu instid0(VALU_DEP_3) | instskip(SKIP_1) | instid1(VALU_DEP_3)
	v_fma_f64 v[100:101], v[130:131], s[14:15], v[90:91]
	v_fma_f64 v[90:91], v[130:131], s[16:17], v[90:91]
	v_add_f64 v[65:66], v[65:66], v[84:85]
	v_add_f64 v[84:85], v[37:38], v[53:54]
	s_delay_alu instid0(VALU_DEP_4) | instskip(NEXT) | instid1(VALU_DEP_4)
	v_fma_f64 v[100:101], v[132:133], s[10:11], v[100:101]
	v_fma_f64 v[90:91], v[132:133], s[4:5], v[90:91]
	s_delay_alu instid0(VALU_DEP_3) | instskip(NEXT) | instid1(VALU_DEP_3)
	v_fma_f64 v[84:85], v[84:85], -0.5, v[102:103]
	v_fma_f64 v[100:101], v[65:66], s[18:19], v[100:101]
	s_delay_alu instid0(VALU_DEP_3) | instskip(SKIP_4) | instid1(VALU_DEP_3)
	v_fma_f64 v[124:125], v[65:66], s[18:19], v[90:91]
	v_add_f64 v[90:91], v[104:105], v[35:36]
	v_add_f64 v[65:66], v[45:46], v[47:48]
	v_fma_f64 v[98:99], v[126:127], s[16:17], v[84:85]
	v_fma_f64 v[84:85], v[126:127], s[14:15], v[84:85]
	v_fma_f64 v[65:66], v[65:66], -0.5, v[104:105]
	s_delay_alu instid0(VALU_DEP_3) | instskip(NEXT) | instid1(VALU_DEP_3)
	v_fma_f64 v[98:99], v[128:129], s[4:5], v[98:99]
	v_fma_f64 v[84:85], v[128:129], s[10:11], v[84:85]
	s_delay_alu instid0(VALU_DEP_2) | instskip(NEXT) | instid1(VALU_DEP_2)
	v_fma_f64 v[98:99], v[51:52], s[18:19], v[98:99]
	v_fma_f64 v[122:123], v[51:52], s[18:19], v[84:85]
	v_add_f64 v[51:52], v[43:44], v[49:50]
	v_add_f64 v[84:85], v[102:103], v[37:38]
	s_delay_alu instid0(VALU_DEP_2) | instskip(SKIP_1) | instid1(VALU_DEP_3)
	v_fma_f64 v[51:52], v[51:52], -0.5, v[102:103]
	v_add_f64 v[102:103], v[37:38], -v[43:44]
	v_add_f64 v[37:38], v[84:85], v[43:44]
	v_add_f64 v[43:44], v[90:91], v[45:46]
	v_add_f64 v[45:46], v[35:36], -v[45:46]
	s_delay_alu instid0(VALU_DEP_3) | instskip(NEXT) | instid1(VALU_DEP_3)
	v_add_f64 v[35:36], v[37:38], v[49:50]
	v_add_f64 v[37:38], v[43:44], v[47:48]
	v_add_f64 v[43:44], v[53:54], -v[49:50]
	v_add_f64 v[47:48], v[55:56], -v[47:48]
	v_fma_f64 v[49:50], v[128:129], s[14:15], v[51:52]
	v_fma_f64 v[51:52], v[128:129], s[16:17], v[51:52]
	v_add_f64 v[35:36], v[35:36], v[53:54]
	v_add_f64 v[37:38], v[37:38], v[55:56]
	v_fma_f64 v[55:56], v[132:133], s[14:15], v[65:66]
	v_fma_f64 v[53:54], v[132:133], s[16:17], v[65:66]
	v_add_f64 v[65:66], v[102:103], v[43:44]
	v_add_f64 v[84:85], v[45:46], v[47:48]
	v_fma_f64 v[43:44], v[126:127], s[4:5], v[49:50]
	v_fma_f64 v[47:48], v[126:127], s[10:11], v[51:52]
	;; [unrolled: 1-line block ×4, first 2 shown]
	ds_load_b128 v[51:54], v88 offset:624
	ds_load_b128 v[102:105], v88 offset:832
	s_waitcnt lgkmcnt(0)
	v_fma_f64 v[43:44], v[65:66], s[18:19], v[43:44]
	v_fma_f64 v[47:48], v[65:66], s[18:19], v[47:48]
	s_barrier
	buffer_gl0_inv
	ds_store_b128 v88, v[67:70]
	ds_store_b128 v88, v[106:109] offset:208
	ds_store_b128 v88, v[71:74] offset:416
	;; [unrolled: 1-line block ×9, first 2 shown]
	v_lshlrev_b32_e32 v39, 4, v97
	v_lshlrev_b32_e32 v40, 4, v96
	v_add_f64 v[41:42], v[31:32], -v[27:28]
	v_add_f64 v[57:58], v[25:26], -v[29:30]
	;; [unrolled: 1-line block ×3, first 2 shown]
	v_add3_u32 v39, 0, v39, v250
	v_add3_u32 v65, 0, v40, v250
	v_add_f64 v[55:56], v[21:22], -v[33:34]
	v_add_f64 v[59:60], v[19:20], -v[31:32]
	;; [unrolled: 1-line block ×3, first 2 shown]
	v_fma_f64 v[49:50], v[84:85], s[18:19], v[49:50]
	v_fma_f64 v[45:46], v[84:85], s[18:19], v[45:46]
	ds_store_b128 v39, v[35:38] offset:2080
	ds_store_b128 v39, v[43:46] offset:2288
	;; [unrolled: 1-line block ×5, first 2 shown]
	v_add_f64 v[39:40], v[23:24], v[27:28]
	v_add_f64 v[35:36], v[51:52], v[19:20]
	;; [unrolled: 1-line block ×3, first 2 shown]
	s_delay_alu instid0(VALU_DEP_3) | instskip(SKIP_1) | instid1(VALU_DEP_4)
	v_fma_f64 v[43:44], v[39:40], -0.5, v[51:52]
	v_add_f64 v[39:40], v[25:26], v[29:30]
	v_add_f64 v[35:36], v[35:36], v[23:24]
	s_delay_alu instid0(VALU_DEP_4) | instskip(NEXT) | instid1(VALU_DEP_3)
	v_add_f64 v[37:38], v[37:38], v[25:26]
	v_fma_f64 v[45:46], v[39:40], -0.5, v[53:54]
	v_add_f64 v[39:40], v[19:20], v[31:32]
	s_delay_alu instid0(VALU_DEP_4) | instskip(NEXT) | instid1(VALU_DEP_4)
	v_add_f64 v[35:36], v[35:36], v[27:28]
	v_add_f64 v[37:38], v[37:38], v[29:30]
	s_delay_alu instid0(VALU_DEP_3) | instskip(SKIP_1) | instid1(VALU_DEP_4)
	v_fma_f64 v[47:48], v[39:40], -0.5, v[51:52]
	v_add_f64 v[39:40], v[21:22], v[33:34]
	v_add_f64 v[35:36], v[35:36], v[31:32]
	s_delay_alu instid0(VALU_DEP_4) | instskip(NEXT) | instid1(VALU_DEP_3)
	v_add_f64 v[37:38], v[37:38], v[33:34]
	v_fma_f64 v[49:50], v[39:40], -0.5, v[53:54]
	v_add_f64 v[39:40], v[19:20], -v[23:24]
	v_add_f64 v[19:20], v[23:24], -v[19:20]
	;; [unrolled: 1-line block ×3, first 2 shown]
	v_fma_f64 v[27:28], v[57:58], s[16:17], v[47:48]
	v_fma_f64 v[31:32], v[61:62], s[14:15], v[49:50]
	v_add_f64 v[51:52], v[39:40], v[41:42]
	v_add_f64 v[39:40], v[21:22], -v[25:26]
	v_add_f64 v[41:42], v[33:34], -v[29:30]
	;; [unrolled: 1-line block ×4, first 2 shown]
	v_fma_f64 v[29:30], v[57:58], s[14:15], v[47:48]
	v_fma_f64 v[33:34], v[61:62], s[16:17], v[49:50]
	v_add_f64 v[23:24], v[19:20], v[23:24]
	v_fma_f64 v[19:20], v[55:56], s[4:5], v[27:28]
	v_add_f64 v[53:54], v[39:40], v[41:42]
	;; [unrolled: 2-line block ×3, first 2 shown]
	v_fma_f64 v[27:28], v[55:56], s[10:11], v[29:30]
	v_fma_f64 v[21:22], v[59:60], s[10:11], v[31:32]
	;; [unrolled: 1-line block ×7, first 2 shown]
	v_add_f64 v[55:56], v[4:5], -v[10:11]
	v_add_f64 v[59:60], v[102:103], v[2:3]
	v_fma_f64 v[39:40], v[57:58], s[4:5], v[39:40]
	v_fma_f64 v[23:24], v[23:24], s[18:19], v[27:28]
	;; [unrolled: 1-line block ×4, first 2 shown]
	v_add_f64 v[27:28], v[4:5], -v[2:3]
	v_add_f64 v[29:30], v[10:11], -v[12:13]
	v_fma_f64 v[43:44], v[57:58], s[10:11], v[43:44]
	v_fma_f64 v[41:42], v[61:62], s[10:11], v[41:42]
	;; [unrolled: 1-line block ×3, first 2 shown]
	v_add_f64 v[57:58], v[2:3], -v[12:13]
	v_add_f64 v[61:62], v[104:105], v[0:1]
	v_fma_f64 v[39:40], v[51:52], s[18:19], v[39:40]
	v_add_f64 v[31:32], v[27:28], v[29:30]
	v_add_f64 v[27:28], v[6:7], -v[0:1]
	v_add_f64 v[29:30], v[8:9], -v[14:15]
	v_fma_f64 v[43:44], v[51:52], s[18:19], v[43:44]
	v_add_f64 v[51:52], v[6:7], -v[8:9]
	v_fma_f64 v[41:42], v[53:54], s[18:19], v[41:42]
	v_fma_f64 v[45:46], v[53:54], s[18:19], v[45:46]
	v_add_f64 v[53:54], v[0:1], -v[14:15]
	ds_store_b128 v65, v[35:38] offset:3120
	ds_store_b128 v65, v[39:42] offset:3328
	;; [unrolled: 1-line block ×3, first 2 shown]
	v_add_f64 v[33:34], v[27:28], v[29:30]
	v_add_f64 v[27:28], v[2:3], v[12:13]
	;; [unrolled: 1-line block ×3, first 2 shown]
	s_delay_alu instid0(VALU_DEP_2) | instskip(SKIP_1) | instid1(VALU_DEP_1)
	v_fma_f64 v[47:48], v[27:28], -0.5, v[102:103]
	v_add_f64 v[27:28], v[0:1], v[14:15]
	v_fma_f64 v[49:50], v[27:28], -0.5, v[104:105]
	s_delay_alu instid0(VALU_DEP_3) | instskip(SKIP_1) | instid1(VALU_DEP_3)
	v_fma_f64 v[27:28], v[51:52], s[16:17], v[47:48]
	v_fma_f64 v[47:48], v[51:52], s[14:15], v[47:48]
	;; [unrolled: 1-line block ×4, first 2 shown]
	s_delay_alu instid0(VALU_DEP_4) | instskip(NEXT) | instid1(VALU_DEP_4)
	v_fma_f64 v[27:28], v[53:54], s[4:5], v[27:28]
	v_fma_f64 v[47:48], v[53:54], s[10:11], v[47:48]
	s_delay_alu instid0(VALU_DEP_4) | instskip(NEXT) | instid1(VALU_DEP_4)
	v_fma_f64 v[29:30], v[57:58], s[10:11], v[29:30]
	v_fma_f64 v[49:50], v[57:58], s[4:5], v[49:50]
	;; [unrolled: 3-line block ×3, first 2 shown]
	v_add_f64 v[47:48], v[4:5], v[10:11]
	v_add_f64 v[4:5], v[61:62], v[6:7]
	v_fma_f64 v[29:30], v[33:34], s[18:19], v[29:30]
	v_fma_f64 v[33:34], v[33:34], s[18:19], v[49:50]
	v_add_f64 v[49:50], v[6:7], v[8:9]
	v_add_f64 v[6:7], v[0:1], -v[6:7]
	v_fma_f64 v[47:48], v[47:48], -0.5, v[102:103]
	v_add_f64 v[0:1], v[2:3], v[10:11]
	v_add_f64 v[2:3], v[4:5], v[8:9]
	v_add_f64 v[4:5], v[12:13], -v[10:11]
	v_add_f64 v[8:9], v[14:15], -v[8:9]
	v_fma_f64 v[49:50], v[49:50], -0.5, v[104:105]
	v_fma_f64 v[10:11], v[53:54], s[14:15], v[47:48]
	v_add_f64 v[0:1], v[0:1], v[12:13]
	v_add_f64 v[2:3], v[2:3], v[14:15]
	v_fma_f64 v[12:13], v[53:54], s[16:17], v[47:48]
	v_add_f64 v[53:54], v[6:7], v[8:9]
	v_fma_f64 v[14:15], v[57:58], s[16:17], v[49:50]
	v_fma_f64 v[47:48], v[57:58], s[14:15], v[49:50]
	v_add_f64 v[49:50], v[63:64], v[4:5]
	v_fma_f64 v[4:5], v[51:52], s[4:5], v[10:11]
	v_fma_f64 v[8:9], v[51:52], s[10:11], v[12:13]
	v_lshlrev_b32_e32 v12, 4, v95
	s_delay_alu instid0(VALU_DEP_1) | instskip(SKIP_4) | instid1(VALU_DEP_4)
	v_add3_u32 v12, 0, v12, v250
	v_fma_f64 v[6:7], v[55:56], s[10:11], v[14:15]
	v_fma_f64 v[10:11], v[55:56], s[4:5], v[47:48]
	;; [unrolled: 1-line block ×5, first 2 shown]
	s_delay_alu instid0(VALU_DEP_4)
	v_fma_f64 v[10:11], v[53:54], s[18:19], v[10:11]
	ds_store_b128 v65, v[23:26] offset:3744
	ds_store_b128 v65, v[43:46] offset:3952
	;; [unrolled: 1-line block ×7, first 2 shown]
	s_waitcnt lgkmcnt(0)
	s_barrier
	buffer_gl0_inv
	s_clause 0x3
	global_load_b128 v[0:3], v[17:18], off offset:832
	global_load_b128 v[4:7], v[17:18], off offset:848
	;; [unrolled: 1-line block ×4, first 2 shown]
	ds_load_b128 v[17:20], v88 offset:1040
	ds_load_b128 v[21:24], v88 offset:1248
	;; [unrolled: 1-line block ×4, first 2 shown]
	s_waitcnt vmcnt(3) lgkmcnt(3)
	v_mul_f64 v[29:30], v[19:20], v[2:3]
	v_mul_f64 v[2:3], v[17:18], v[2:3]
	s_delay_alu instid0(VALU_DEP_2) | instskip(NEXT) | instid1(VALU_DEP_2)
	v_fma_f64 v[51:52], v[17:18], v[0:1], -v[29:30]
	v_fma_f64 v[49:50], v[19:20], v[0:1], v[2:3]
	s_waitcnt vmcnt(2) lgkmcnt(1)
	v_mul_f64 v[0:1], v[27:28], v[6:7]
	v_mul_f64 v[2:3], v[25:26], v[6:7]
	s_delay_alu instid0(VALU_DEP_2) | instskip(NEXT) | instid1(VALU_DEP_2)
	v_fma_f64 v[73:74], v[25:26], v[4:5], -v[0:1]
	v_fma_f64 v[69:70], v[27:28], v[4:5], v[2:3]
	ds_load_b128 v[0:3], v88 offset:3120
	ds_load_b128 v[4:7], v88 offset:3328
	s_waitcnt vmcnt(1) lgkmcnt(1)
	v_mul_f64 v[17:18], v[2:3], v[10:11]
	v_add_f64 v[117:118], v[73:74], -v[51:52]
	s_delay_alu instid0(VALU_DEP_2) | instskip(SKIP_1) | instid1(VALU_DEP_2)
	v_fma_f64 v[80:81], v[0:1], v[8:9], -v[17:18]
	v_mul_f64 v[0:1], v[0:1], v[10:11]
	v_add_f64 v[115:116], v[73:74], -v[80:81]
	s_delay_alu instid0(VALU_DEP_2)
	v_fma_f64 v[71:72], v[2:3], v[8:9], v[0:1]
	ds_load_b128 v[0:3], v88 offset:4160
	ds_load_b128 v[99:102], v88 offset:3952
	s_waitcnt vmcnt(0) lgkmcnt(1)
	v_mul_f64 v[8:9], v[0:1], v[14:15]
	v_add_f64 v[111:112], v[69:70], -v[71:72]
	s_delay_alu instid0(VALU_DEP_2) | instskip(SKIP_2) | instid1(VALU_DEP_3)
	v_fma_f64 v[82:83], v[2:3], v[12:13], v[8:9]
	v_mul_f64 v[2:3], v[2:3], v[14:15]
	v_lshlrev_b32_e32 v15, 2, v89
	v_add_f64 v[109:110], v[49:50], -v[82:83]
	s_delay_alu instid0(VALU_DEP_3) | instskip(NEXT) | instid1(VALU_DEP_3)
	v_fma_f64 v[84:85], v[0:1], v[12:13], -v[2:3]
	v_lshlrev_b64 v[0:1], 4, v[15:16]
	s_delay_alu instid0(VALU_DEP_1) | instskip(NEXT) | instid1(VALU_DEP_1)
	v_add_co_u32 v12, s0, s8, v0
	v_add_co_ci_u32_e64 v13, s0, s9, v1, s0
	s_clause 0x1
	global_load_b128 v[0:3], v[12:13], off offset:832
	global_load_b128 v[8:11], v[12:13], off offset:848
	v_add_f64 v[113:114], v[51:52], -v[84:85]
	s_waitcnt vmcnt(1)
	v_mul_f64 v[14:15], v[23:24], v[2:3]
	v_mul_f64 v[2:3], v[21:22], v[2:3]
	s_delay_alu instid0(VALU_DEP_2) | instskip(NEXT) | instid1(VALU_DEP_2)
	v_fma_f64 v[55:56], v[21:22], v[0:1], -v[14:15]
	v_fma_f64 v[53:54], v[23:24], v[0:1], v[2:3]
	ds_load_b128 v[0:3], v88 offset:2288
	ds_load_b128 v[17:20], v88 offset:2496
	s_waitcnt vmcnt(0) lgkmcnt(1)
	v_mul_f64 v[14:15], v[2:3], v[10:11]
	s_delay_alu instid0(VALU_DEP_1) | instskip(SKIP_2) | instid1(VALU_DEP_3)
	v_fma_f64 v[57:58], v[0:1], v[8:9], -v[14:15]
	v_mul_f64 v[0:1], v[0:1], v[10:11]
	v_lshlrev_b32_e32 v15, 2, v92
	v_add_f64 v[121:122], v[55:56], -v[57:58]
	s_delay_alu instid0(VALU_DEP_3)
	v_fma_f64 v[59:60], v[2:3], v[8:9], v[0:1]
	s_clause 0x1
	global_load_b128 v[0:3], v[12:13], off offset:864
	global_load_b128 v[8:11], v[12:13], off offset:880
	s_waitcnt vmcnt(1)
	v_mul_f64 v[12:13], v[6:7], v[2:3]
	v_mul_f64 v[2:3], v[4:5], v[2:3]
	s_delay_alu instid0(VALU_DEP_2) | instskip(NEXT) | instid1(VALU_DEP_2)
	v_fma_f64 v[63:64], v[4:5], v[0:1], -v[12:13]
	v_fma_f64 v[61:62], v[6:7], v[0:1], v[2:3]
	ds_load_b128 v[0:3], v88 offset:4368
	ds_load_b128 v[4:7], v88 offset:4576
	s_waitcnt vmcnt(0) lgkmcnt(1)
	v_mul_f64 v[12:13], v[2:3], v[10:11]
	s_delay_alu instid0(VALU_DEP_1) | instskip(SKIP_1) | instid1(VALU_DEP_2)
	v_fma_f64 v[65:66], v[0:1], v[8:9], -v[12:13]
	v_mul_f64 v[0:1], v[0:1], v[10:11]
	v_add_f64 v[119:120], v[55:56], -v[65:66]
	s_delay_alu instid0(VALU_DEP_2) | instskip(SKIP_1) | instid1(VALU_DEP_1)
	v_fma_f64 v[67:68], v[2:3], v[8:9], v[0:1]
	v_lshlrev_b64 v[0:1], 4, v[15:16]
	v_add_co_u32 v25, s0, s8, v0
	s_delay_alu instid0(VALU_DEP_1)
	v_add_co_ci_u32_e64 v26, s0, s9, v1, s0
	s_clause 0x1
	global_load_b128 v[0:3], v[25:26], off offset:832
	global_load_b128 v[8:11], v[25:26], off offset:848
	ds_load_b128 v[12:15], v88 offset:1456
	ds_load_b128 v[21:24], v88 offset:1664
	s_waitcnt vmcnt(1) lgkmcnt(1)
	v_mul_f64 v[27:28], v[14:15], v[2:3]
	v_mul_f64 v[2:3], v[12:13], v[2:3]
	s_delay_alu instid0(VALU_DEP_2) | instskip(NEXT) | instid1(VALU_DEP_2)
	v_fma_f64 v[35:36], v[12:13], v[0:1], -v[27:28]
	v_fma_f64 v[33:34], v[14:15], v[0:1], v[2:3]
	s_waitcnt vmcnt(0)
	v_mul_f64 v[0:1], v[19:20], v[10:11]
	s_delay_alu instid0(VALU_DEP_1) | instskip(SKIP_1) | instid1(VALU_DEP_1)
	v_fma_f64 v[37:38], v[17:18], v[8:9], -v[0:1]
	v_mul_f64 v[0:1], v[17:18], v[10:11]
	v_fma_f64 v[39:40], v[19:20], v[8:9], v[0:1]
	s_clause 0x1
	global_load_b128 v[0:3], v[25:26], off offset:864
	global_load_b128 v[8:11], v[25:26], off offset:880
	ds_load_b128 v[12:15], v88 offset:3536
	ds_load_b128 v[29:32], v88 offset:3744
	s_waitcnt vmcnt(1) lgkmcnt(1)
	v_mul_f64 v[17:18], v[14:15], v[2:3]
	v_mul_f64 v[2:3], v[12:13], v[2:3]
	s_delay_alu instid0(VALU_DEP_2) | instskip(NEXT) | instid1(VALU_DEP_2)
	v_fma_f64 v[43:44], v[12:13], v[0:1], -v[17:18]
	v_fma_f64 v[41:42], v[14:15], v[0:1], v[2:3]
	s_waitcnt vmcnt(0)
	v_mul_f64 v[0:1], v[6:7], v[10:11]
	v_lshlrev_b32_e32 v15, 2, v93
	s_delay_alu instid0(VALU_DEP_2) | instskip(SKIP_1) | instid1(VALU_DEP_1)
	v_fma_f64 v[45:46], v[4:5], v[8:9], -v[0:1]
	v_mul_f64 v[0:1], v[4:5], v[10:11]
	v_fma_f64 v[47:48], v[6:7], v[8:9], v[0:1]
	s_delay_alu instid0(VALU_DEP_4) | instskip(NEXT) | instid1(VALU_DEP_1)
	v_lshlrev_b64 v[0:1], 4, v[15:16]
	v_add_co_u32 v12, s0, s8, v0
	s_delay_alu instid0(VALU_DEP_1)
	v_add_co_ci_u32_e64 v13, s0, s9, v1, s0
	s_clause 0x1
	global_load_b128 v[0:3], v[12:13], off offset:832
	global_load_b128 v[4:7], v[12:13], off offset:848
	s_waitcnt vmcnt(1)
	v_mul_f64 v[8:9], v[23:24], v[2:3]
	v_mul_f64 v[2:3], v[21:22], v[2:3]
	s_delay_alu instid0(VALU_DEP_2) | instskip(NEXT) | instid1(VALU_DEP_2)
	v_fma_f64 v[19:20], v[21:22], v[0:1], -v[8:9]
	v_fma_f64 v[17:18], v[23:24], v[0:1], v[2:3]
	ds_load_b128 v[0:3], v88 offset:2704
	ds_load_b128 v[8:11], v88 offset:2912
	s_waitcnt vmcnt(0) lgkmcnt(1)
	v_mul_f64 v[14:15], v[2:3], v[6:7]
	s_delay_alu instid0(VALU_DEP_1) | instskip(SKIP_2) | instid1(VALU_DEP_2)
	v_fma_f64 v[21:22], v[0:1], v[4:5], -v[14:15]
	v_mul_f64 v[0:1], v[0:1], v[6:7]
	v_lshlrev_b32_e32 v15, 2, v94
	v_fma_f64 v[23:24], v[2:3], v[4:5], v[0:1]
	s_clause 0x1
	global_load_b128 v[0:3], v[12:13], off offset:864
	global_load_b128 v[4:7], v[12:13], off offset:880
	s_waitcnt vmcnt(1)
	v_mul_f64 v[12:13], v[31:32], v[2:3]
	v_mul_f64 v[2:3], v[29:30], v[2:3]
	s_delay_alu instid0(VALU_DEP_2) | instskip(NEXT) | instid1(VALU_DEP_2)
	v_fma_f64 v[27:28], v[29:30], v[0:1], -v[12:13]
	v_fma_f64 v[25:26], v[31:32], v[0:1], v[2:3]
	ds_load_b128 v[0:3], v88 offset:4784
	ds_load_b128 v[103:106], v88 offset:4992
	s_waitcnt vmcnt(0) lgkmcnt(1)
	v_mul_f64 v[12:13], v[2:3], v[6:7]
	s_delay_alu instid0(VALU_DEP_1) | instskip(SKIP_1) | instid1(VALU_DEP_1)
	v_fma_f64 v[29:30], v[0:1], v[4:5], -v[12:13]
	v_mul_f64 v[0:1], v[0:1], v[6:7]
	v_fma_f64 v[31:32], v[2:3], v[4:5], v[0:1]
	v_lshlrev_b64 v[0:1], 4, v[15:16]
	s_delay_alu instid0(VALU_DEP_1) | instskip(NEXT) | instid1(VALU_DEP_1)
	v_add_co_u32 v89, s0, s8, v0
	v_add_co_ci_u32_e64 v90, s0, s9, v1, s0
	s_clause 0x1
	global_load_b128 v[4:7], v[89:90], off offset:832
	global_load_b128 v[12:15], v[89:90], off offset:848
	s_waitcnt vmcnt(1)
	v_mul_f64 v[0:1], v[97:98], v[6:7]
	s_delay_alu instid0(VALU_DEP_1) | instskip(SKIP_3) | instid1(VALU_DEP_2)
	v_fma_f64 v[2:3], v[95:96], v[4:5], -v[0:1]
	v_mul_f64 v[0:1], v[95:96], v[6:7]
	s_waitcnt vmcnt(0)
	v_mul_f64 v[6:7], v[8:9], v[14:15]
	v_fma_f64 v[0:1], v[97:98], v[4:5], v[0:1]
	v_mul_f64 v[4:5], v[10:11], v[14:15]
	s_delay_alu instid0(VALU_DEP_3) | instskip(SKIP_1) | instid1(VALU_DEP_3)
	v_fma_f64 v[6:7], v[10:11], v[12:13], v[6:7]
	v_add_f64 v[97:98], v[73:74], v[80:81]
	v_fma_f64 v[4:5], v[8:9], v[12:13], -v[4:5]
	s_clause 0x1
	global_load_b128 v[12:15], v[89:90], off offset:864
	global_load_b128 v[91:94], v[89:90], off offset:880
	v_add_f64 v[89:90], v[51:52], -v[73:74]
	s_waitcnt vmcnt(1)
	v_mul_f64 v[8:9], v[101:102], v[14:15]
	s_delay_alu instid0(VALU_DEP_1) | instskip(SKIP_3) | instid1(VALU_DEP_2)
	v_fma_f64 v[10:11], v[99:100], v[12:13], -v[8:9]
	v_mul_f64 v[8:9], v[99:100], v[14:15]
	s_waitcnt vmcnt(0) lgkmcnt(0)
	v_mul_f64 v[14:15], v[103:104], v[93:94]
	v_fma_f64 v[8:9], v[101:102], v[12:13], v[8:9]
	v_mul_f64 v[12:13], v[105:106], v[93:94]
	s_delay_alu instid0(VALU_DEP_3) | instskip(NEXT) | instid1(VALU_DEP_2)
	v_fma_f64 v[14:15], v[105:106], v[91:92], v[14:15]
	v_fma_f64 v[12:13], v[103:104], v[91:92], -v[12:13]
	v_add_f64 v[91:92], v[84:85], -v[80:81]
	s_delay_alu instid0(VALU_DEP_1) | instskip(SKIP_2) | instid1(VALU_DEP_1)
	v_add_f64 v[101:102], v[89:90], v[91:92]
	v_add_f64 v[89:90], v[49:50], -v[69:70]
	v_add_f64 v[91:92], v[82:83], -v[71:72]
	v_add_f64 v[103:104], v[89:90], v[91:92]
	ds_load_b128 v[89:92], v87
	ds_load_b128 v[93:96], v88 offset:416
	s_waitcnt lgkmcnt(1)
	v_fma_f64 v[105:106], v[97:98], -0.5, v[89:90]
	v_add_f64 v[97:98], v[69:70], v[71:72]
	s_delay_alu instid0(VALU_DEP_1) | instskip(NEXT) | instid1(VALU_DEP_3)
	v_fma_f64 v[107:108], v[97:98], -0.5, v[91:92]
	v_fma_f64 v[97:98], v[109:110], s[14:15], v[105:106]
	v_fma_f64 v[105:106], v[109:110], s[16:17], v[105:106]
	s_delay_alu instid0(VALU_DEP_3) | instskip(SKIP_1) | instid1(VALU_DEP_4)
	v_fma_f64 v[99:100], v[113:114], s[16:17], v[107:108]
	v_fma_f64 v[107:108], v[113:114], s[14:15], v[107:108]
	;; [unrolled: 1-line block ×3, first 2 shown]
	s_delay_alu instid0(VALU_DEP_4) | instskip(NEXT) | instid1(VALU_DEP_4)
	v_fma_f64 v[105:106], v[111:112], s[10:11], v[105:106]
	v_fma_f64 v[99:100], v[115:116], s[10:11], v[99:100]
	s_delay_alu instid0(VALU_DEP_4) | instskip(NEXT) | instid1(VALU_DEP_4)
	v_fma_f64 v[107:108], v[115:116], s[4:5], v[107:108]
	v_fma_f64 v[97:98], v[101:102], s[18:19], v[97:98]
	s_delay_alu instid0(VALU_DEP_4) | instskip(SKIP_4) | instid1(VALU_DEP_4)
	v_fma_f64 v[101:102], v[101:102], s[18:19], v[105:106]
	v_add_f64 v[105:106], v[51:52], v[84:85]
	v_fma_f64 v[99:100], v[103:104], s[18:19], v[99:100]
	v_fma_f64 v[103:104], v[103:104], s[18:19], v[107:108]
	v_add_f64 v[107:108], v[49:50], v[82:83]
	v_fma_f64 v[105:106], v[105:106], -0.5, v[89:90]
	v_add_f64 v[89:90], v[89:90], v[51:52]
	s_delay_alu instid0(VALU_DEP_3) | instskip(SKIP_1) | instid1(VALU_DEP_3)
	v_fma_f64 v[107:108], v[107:108], -0.5, v[91:92]
	v_add_f64 v[91:92], v[91:92], v[49:50]
	v_add_f64 v[51:52], v[89:90], v[73:74]
	s_delay_alu instid0(VALU_DEP_3) | instskip(NEXT) | instid1(VALU_DEP_3)
	v_fma_f64 v[89:90], v[115:116], s[16:17], v[107:108]
	v_add_f64 v[73:74], v[91:92], v[69:70]
	v_add_f64 v[69:70], v[69:70], -v[49:50]
	s_delay_alu instid0(VALU_DEP_4) | instskip(NEXT) | instid1(VALU_DEP_3)
	v_add_f64 v[49:50], v[51:52], v[80:81]
	v_add_f64 v[51:52], v[73:74], v[71:72]
	v_add_f64 v[73:74], v[80:81], -v[84:85]
	v_add_f64 v[71:72], v[71:72], -v[82:83]
	v_fma_f64 v[80:81], v[111:112], s[16:17], v[105:106]
	v_add_f64 v[49:50], v[49:50], v[84:85]
	v_fma_f64 v[84:85], v[115:116], s[14:15], v[107:108]
	v_add_f64 v[115:116], v[53:54], -v[67:68]
	v_add_f64 v[51:52], v[51:52], v[82:83]
	v_fma_f64 v[82:83], v[111:112], s[14:15], v[105:106]
	v_add_f64 v[73:74], v[117:118], v[73:74]
	v_add_f64 v[91:92], v[69:70], v[71:72]
	v_fma_f64 v[69:70], v[109:110], s[4:5], v[80:81]
	v_fma_f64 v[71:72], v[113:114], s[10:11], v[84:85]
	v_add_f64 v[84:85], v[63:64], -v[65:66]
	v_add_f64 v[105:106], v[55:56], v[65:66]
	v_add_f64 v[117:118], v[57:58], -v[63:64]
	v_fma_f64 v[80:81], v[109:110], s[10:11], v[82:83]
	v_fma_f64 v[82:83], v[113:114], s[4:5], v[89:90]
	v_add_f64 v[89:90], v[61:62], -v[67:68]
	v_fma_f64 v[69:70], v[73:74], s[18:19], v[69:70]
	v_fma_f64 v[71:72], v[91:92], s[18:19], v[71:72]
	v_add_f64 v[113:114], v[59:60], -v[61:62]
	v_fma_f64 v[80:81], v[73:74], s[18:19], v[80:81]
	v_add_f64 v[73:74], v[57:58], -v[55:56]
	v_fma_f64 v[82:83], v[91:92], s[18:19], v[82:83]
	s_delay_alu instid0(VALU_DEP_2) | instskip(SKIP_1) | instid1(VALU_DEP_1)
	v_add_f64 v[73:74], v[73:74], v[84:85]
	v_add_f64 v[84:85], v[59:60], -v[53:54]
	v_add_f64 v[84:85], v[84:85], v[89:90]
	ds_load_b128 v[89:92], v75
	s_waitcnt lgkmcnt(0)
	v_fma_f64 v[109:110], v[105:106], -0.5, v[89:90]
	v_add_f64 v[105:106], v[53:54], v[67:68]
	s_delay_alu instid0(VALU_DEP_1) | instskip(NEXT) | instid1(VALU_DEP_3)
	v_fma_f64 v[111:112], v[105:106], -0.5, v[91:92]
	v_fma_f64 v[105:106], v[113:114], s[16:17], v[109:110]
	v_fma_f64 v[109:110], v[113:114], s[14:15], v[109:110]
	s_delay_alu instid0(VALU_DEP_3) | instskip(SKIP_1) | instid1(VALU_DEP_4)
	v_fma_f64 v[107:108], v[117:118], s[14:15], v[111:112]
	v_fma_f64 v[111:112], v[117:118], s[16:17], v[111:112]
	;; [unrolled: 1-line block ×3, first 2 shown]
	s_delay_alu instid0(VALU_DEP_4) | instskip(NEXT) | instid1(VALU_DEP_4)
	v_fma_f64 v[109:110], v[115:116], s[10:11], v[109:110]
	v_fma_f64 v[107:108], v[119:120], s[10:11], v[107:108]
	s_delay_alu instid0(VALU_DEP_4) | instskip(NEXT) | instid1(VALU_DEP_4)
	v_fma_f64 v[111:112], v[119:120], s[4:5], v[111:112]
	v_fma_f64 v[105:106], v[73:74], s[18:19], v[105:106]
	s_delay_alu instid0(VALU_DEP_4) | instskip(SKIP_4) | instid1(VALU_DEP_4)
	v_fma_f64 v[109:110], v[73:74], s[18:19], v[109:110]
	v_add_f64 v[73:74], v[57:58], v[63:64]
	v_fma_f64 v[107:108], v[84:85], s[18:19], v[107:108]
	v_fma_f64 v[111:112], v[84:85], s[18:19], v[111:112]
	v_add_f64 v[84:85], v[59:60], v[61:62]
	v_fma_f64 v[73:74], v[73:74], -0.5, v[89:90]
	v_add_f64 v[89:90], v[89:90], v[55:56]
	s_delay_alu instid0(VALU_DEP_3) | instskip(SKIP_1) | instid1(VALU_DEP_3)
	v_fma_f64 v[84:85], v[84:85], -0.5, v[91:92]
	v_add_f64 v[91:92], v[91:92], v[53:54]
	v_add_f64 v[55:56], v[89:90], v[57:58]
	s_delay_alu instid0(VALU_DEP_2) | instskip(SKIP_1) | instid1(VALU_DEP_3)
	v_add_f64 v[57:58], v[91:92], v[59:60]
	v_add_f64 v[59:60], v[53:54], -v[59:60]
	v_add_f64 v[53:54], v[55:56], v[63:64]
	s_delay_alu instid0(VALU_DEP_3)
	v_add_f64 v[55:56], v[57:58], v[61:62]
	v_add_f64 v[57:58], v[65:66], -v[63:64]
	v_add_f64 v[61:62], v[67:68], -v[61:62]
	v_fma_f64 v[63:64], v[115:116], s[14:15], v[73:74]
	v_add_f64 v[53:54], v[53:54], v[65:66]
	v_fma_f64 v[65:66], v[115:116], s[16:17], v[73:74]
	v_fma_f64 v[73:74], v[119:120], s[14:15], v[84:85]
	v_add_f64 v[55:56], v[55:56], v[67:68]
	v_fma_f64 v[67:68], v[119:120], s[16:17], v[84:85]
	v_add_f64 v[84:85], v[121:122], v[57:58]
	v_add_f64 v[89:90], v[59:60], v[61:62]
	v_fma_f64 v[57:58], v[113:114], s[4:5], v[63:64]
	v_fma_f64 v[61:62], v[113:114], s[10:11], v[65:66]
	v_fma_f64 v[63:64], v[117:118], s[4:5], v[73:74]
	v_add_f64 v[73:74], v[93:94], v[35:36]
	v_fma_f64 v[59:60], v[117:118], s[10:11], v[67:68]
	v_fma_f64 v[57:58], v[84:85], s[18:19], v[57:58]
	;; [unrolled: 1-line block ×4, first 2 shown]
	s_delay_alu instid0(VALU_DEP_4)
	v_fma_f64 v[59:60], v[89:90], s[18:19], v[59:60]
	ds_load_b128 v[65:68], v88 offset:624
	ds_load_b128 v[89:92], v88 offset:832
	s_waitcnt lgkmcnt(0)
	s_barrier
	buffer_gl0_inv
	ds_store_b128 v88, v[49:52]
	ds_store_b128 v88, v[97:100] offset:1040
	ds_store_b128 v88, v[69:72] offset:2080
	;; [unrolled: 1-line block ×4, first 2 shown]
	ds_store_b128 v75, v[53:56]
	ds_store_b128 v75, v[57:60] offset:1040
	ds_store_b128 v75, v[105:108] offset:2080
	;; [unrolled: 1-line block ×4, first 2 shown]
	v_add_f64 v[49:50], v[35:36], -v[37:38]
	v_add_f64 v[51:52], v[45:46], -v[43:44]
	v_add_f64 v[61:62], v[33:34], -v[47:48]
	v_add_f64 v[69:70], v[35:36], -v[45:46]
	v_add_f64 v[63:64], v[39:40], -v[41:42]
	v_add_f64 v[71:72], v[37:38], -v[43:44]
	v_add_f64 v[80:81], v[95:96], v[33:34]
	v_add_f64 v[82:83], v[37:38], -v[35:36]
	v_add_f64 v[84:85], v[91:92], v[0:1]
	v_add_f64 v[53:54], v[49:50], v[51:52]
	v_add_f64 v[49:50], v[33:34], -v[39:40]
	v_add_f64 v[51:52], v[47:48], -v[41:42]
	s_delay_alu instid0(VALU_DEP_1) | instskip(SKIP_1) | instid1(VALU_DEP_1)
	v_add_f64 v[55:56], v[49:50], v[51:52]
	v_add_f64 v[49:50], v[37:38], v[43:44]
	v_fma_f64 v[57:58], v[49:50], -0.5, v[93:94]
	v_add_f64 v[49:50], v[39:40], v[41:42]
	s_delay_alu instid0(VALU_DEP_1) | instskip(NEXT) | instid1(VALU_DEP_3)
	v_fma_f64 v[59:60], v[49:50], -0.5, v[95:96]
	v_fma_f64 v[49:50], v[61:62], s[14:15], v[57:58]
	v_fma_f64 v[57:58], v[61:62], s[16:17], v[57:58]
	s_delay_alu instid0(VALU_DEP_3) | instskip(SKIP_1) | instid1(VALU_DEP_4)
	v_fma_f64 v[51:52], v[69:70], s[16:17], v[59:60]
	v_fma_f64 v[59:60], v[69:70], s[14:15], v[59:60]
	;; [unrolled: 1-line block ×3, first 2 shown]
	s_delay_alu instid0(VALU_DEP_4) | instskip(NEXT) | instid1(VALU_DEP_4)
	v_fma_f64 v[57:58], v[63:64], s[10:11], v[57:58]
	v_fma_f64 v[51:52], v[71:72], s[10:11], v[51:52]
	s_delay_alu instid0(VALU_DEP_4) | instskip(NEXT) | instid1(VALU_DEP_4)
	v_fma_f64 v[59:60], v[71:72], s[4:5], v[59:60]
	v_fma_f64 v[49:50], v[53:54], s[18:19], v[49:50]
	s_delay_alu instid0(VALU_DEP_4)
	v_fma_f64 v[53:54], v[53:54], s[18:19], v[57:58]
	v_add_f64 v[57:58], v[35:36], v[45:46]
	v_add_f64 v[35:36], v[73:74], v[37:38]
	;; [unrolled: 1-line block ×3, first 2 shown]
	v_add_f64 v[39:40], v[39:40], -v[33:34]
	v_add_f64 v[73:74], v[19:20], -v[29:30]
	;; [unrolled: 1-line block ×3, first 2 shown]
	v_fma_f64 v[51:52], v[55:56], s[18:19], v[51:52]
	v_fma_f64 v[55:56], v[55:56], s[18:19], v[59:60]
	v_add_f64 v[59:60], v[33:34], v[47:48]
	v_fma_f64 v[57:58], v[57:58], -0.5, v[93:94]
	v_add_f64 v[33:34], v[35:36], v[43:44]
	v_add_f64 v[35:36], v[37:38], v[41:42]
	v_add_f64 v[37:38], v[43:44], -v[45:46]
	v_add_f64 v[41:42], v[41:42], -v[47:48]
	v_fma_f64 v[59:60], v[59:60], -0.5, v[95:96]
	v_fma_f64 v[43:44], v[63:64], s[16:17], v[57:58]
	v_add_f64 v[33:34], v[33:34], v[45:46]
	v_add_f64 v[35:36], v[35:36], v[47:48]
	v_fma_f64 v[45:46], v[63:64], s[14:15], v[57:58]
	v_add_f64 v[63:64], v[39:40], v[41:42]
	v_fma_f64 v[47:48], v[71:72], s[14:15], v[59:60]
	v_fma_f64 v[57:58], v[71:72], s[16:17], v[59:60]
	v_add_f64 v[59:60], v[82:83], v[37:38]
	v_fma_f64 v[37:38], v[61:62], s[4:5], v[43:44]
	v_add_f64 v[71:72], v[23:24], -v[25:26]
	v_fma_f64 v[41:42], v[61:62], s[10:11], v[45:46]
	v_add_f64 v[45:46], v[19:20], -v[21:22]
	v_add_f64 v[82:83], v[21:22], -v[19:20]
	v_fma_f64 v[39:40], v[69:70], s[10:11], v[47:48]
	v_add_f64 v[47:48], v[29:30], -v[27:28]
	v_fma_f64 v[43:44], v[69:70], s[4:5], v[57:58]
	v_fma_f64 v[37:38], v[59:60], s[18:19], v[37:38]
	v_add_f64 v[69:70], v[17:18], -v[31:32]
	v_fma_f64 v[41:42], v[59:60], s[18:19], v[41:42]
	v_fma_f64 v[39:40], v[63:64], s[18:19], v[39:40]
	v_add_f64 v[57:58], v[45:46], v[47:48]
	v_add_f64 v[45:46], v[17:18], -v[23:24]
	v_add_f64 v[47:48], v[31:32], -v[25:26]
	v_fma_f64 v[43:44], v[63:64], s[18:19], v[43:44]
	s_delay_alu instid0(VALU_DEP_2) | instskip(SKIP_1) | instid1(VALU_DEP_1)
	v_add_f64 v[59:60], v[45:46], v[47:48]
	v_add_f64 v[45:46], v[21:22], v[27:28]
	v_fma_f64 v[61:62], v[45:46], -0.5, v[65:66]
	v_add_f64 v[45:46], v[23:24], v[25:26]
	s_delay_alu instid0(VALU_DEP_1) | instskip(NEXT) | instid1(VALU_DEP_3)
	v_fma_f64 v[63:64], v[45:46], -0.5, v[67:68]
	v_fma_f64 v[45:46], v[69:70], s[14:15], v[61:62]
	v_fma_f64 v[61:62], v[69:70], s[16:17], v[61:62]
	s_delay_alu instid0(VALU_DEP_3) | instskip(SKIP_1) | instid1(VALU_DEP_4)
	v_fma_f64 v[47:48], v[73:74], s[16:17], v[63:64]
	v_fma_f64 v[63:64], v[73:74], s[14:15], v[63:64]
	;; [unrolled: 1-line block ×3, first 2 shown]
	s_delay_alu instid0(VALU_DEP_4) | instskip(NEXT) | instid1(VALU_DEP_4)
	v_fma_f64 v[61:62], v[71:72], s[10:11], v[61:62]
	v_fma_f64 v[47:48], v[80:81], s[10:11], v[47:48]
	s_delay_alu instid0(VALU_DEP_4) | instskip(NEXT) | instid1(VALU_DEP_4)
	v_fma_f64 v[63:64], v[80:81], s[4:5], v[63:64]
	v_fma_f64 v[45:46], v[57:58], s[18:19], v[45:46]
	s_delay_alu instid0(VALU_DEP_4) | instskip(SKIP_4) | instid1(VALU_DEP_4)
	v_fma_f64 v[57:58], v[57:58], s[18:19], v[61:62]
	v_add_f64 v[61:62], v[19:20], v[29:30]
	v_fma_f64 v[47:48], v[59:60], s[18:19], v[47:48]
	v_fma_f64 v[59:60], v[59:60], s[18:19], v[63:64]
	v_add_f64 v[63:64], v[17:18], v[31:32]
	v_fma_f64 v[61:62], v[61:62], -0.5, v[65:66]
	v_add_f64 v[65:66], v[65:66], v[19:20]
	s_delay_alu instid0(VALU_DEP_3) | instskip(SKIP_1) | instid1(VALU_DEP_3)
	v_fma_f64 v[63:64], v[63:64], -0.5, v[67:68]
	v_add_f64 v[67:68], v[67:68], v[17:18]
	v_add_f64 v[19:20], v[65:66], v[21:22]
	s_delay_alu instid0(VALU_DEP_2) | instskip(SKIP_1) | instid1(VALU_DEP_3)
	v_add_f64 v[21:22], v[67:68], v[23:24]
	v_add_f64 v[23:24], v[23:24], -v[17:18]
	v_add_f64 v[16:17], v[19:20], v[27:28]
	s_delay_alu instid0(VALU_DEP_3) | instskip(SKIP_1) | instid1(VALU_DEP_3)
	v_add_f64 v[18:19], v[21:22], v[25:26]
	v_add_f64 v[20:21], v[27:28], -v[29:30]
	v_add_f64 v[16:17], v[16:17], v[29:30]
	v_add_f64 v[25:26], v[25:26], -v[31:32]
	v_fma_f64 v[27:28], v[71:72], s[16:17], v[61:62]
	v_fma_f64 v[29:30], v[71:72], s[14:15], v[61:62]
	;; [unrolled: 1-line block ×3, first 2 shown]
	v_add_f64 v[71:72], v[0:1], -v[14:15]
	v_add_f64 v[18:19], v[18:19], v[31:32]
	v_fma_f64 v[31:32], v[80:81], s[14:15], v[63:64]
	v_add_f64 v[63:64], v[82:83], v[20:21]
	v_add_f64 v[65:66], v[23:24], v[25:26]
	v_fma_f64 v[20:21], v[69:70], s[4:5], v[27:28]
	v_fma_f64 v[24:25], v[69:70], s[10:11], v[29:30]
	v_add_f64 v[28:29], v[4:5], -v[2:3]
	v_fma_f64 v[26:27], v[73:74], s[4:5], v[61:62]
	v_add_f64 v[69:70], v[6:7], -v[8:9]
	v_add_f64 v[80:81], v[2:3], -v[12:13]
	v_add_f64 v[82:83], v[89:90], v[2:3]
	v_fma_f64 v[22:23], v[73:74], s[10:11], v[31:32]
	v_add_f64 v[30:31], v[10:11], -v[12:13]
	v_add_f64 v[73:74], v[4:5], -v[10:11]
	v_fma_f64 v[20:21], v[63:64], s[18:19], v[20:21]
	v_fma_f64 v[24:25], v[63:64], s[18:19], v[24:25]
	;; [unrolled: 1-line block ×4, first 2 shown]
	v_add_f64 v[61:62], v[28:29], v[30:31]
	v_add_f64 v[28:29], v[6:7], -v[0:1]
	v_add_f64 v[30:31], v[8:9], -v[14:15]
	s_delay_alu instid0(VALU_DEP_1) | instskip(SKIP_1) | instid1(VALU_DEP_1)
	v_add_f64 v[63:64], v[28:29], v[30:31]
	v_add_f64 v[28:29], v[2:3], v[12:13]
	v_fma_f64 v[65:66], v[28:29], -0.5, v[89:90]
	v_add_f64 v[28:29], v[0:1], v[14:15]
	s_delay_alu instid0(VALU_DEP_1) | instskip(NEXT) | instid1(VALU_DEP_3)
	v_fma_f64 v[67:68], v[28:29], -0.5, v[91:92]
	v_fma_f64 v[28:29], v[69:70], s[16:17], v[65:66]
	v_fma_f64 v[65:66], v[69:70], s[14:15], v[65:66]
	s_delay_alu instid0(VALU_DEP_3) | instskip(NEXT) | instid1(VALU_DEP_3)
	v_fma_f64 v[30:31], v[73:74], s[14:15], v[67:68]
	v_fma_f64 v[28:29], v[71:72], s[4:5], v[28:29]
	;; [unrolled: 1-line block ×3, first 2 shown]
	s_delay_alu instid0(VALU_DEP_4) | instskip(NEXT) | instid1(VALU_DEP_4)
	v_fma_f64 v[65:66], v[71:72], s[10:11], v[65:66]
	v_fma_f64 v[30:31], v[80:81], s[10:11], v[30:31]
	s_delay_alu instid0(VALU_DEP_4) | instskip(NEXT) | instid1(VALU_DEP_4)
	v_fma_f64 v[28:29], v[61:62], s[18:19], v[28:29]
	v_fma_f64 v[67:68], v[80:81], s[4:5], v[67:68]
	s_delay_alu instid0(VALU_DEP_4) | instskip(SKIP_2) | instid1(VALU_DEP_4)
	v_fma_f64 v[61:62], v[61:62], s[18:19], v[65:66]
	v_add_f64 v[65:66], v[4:5], v[10:11]
	v_fma_f64 v[30:31], v[63:64], s[18:19], v[30:31]
	v_fma_f64 v[63:64], v[63:64], s[18:19], v[67:68]
	v_add_f64 v[67:68], v[6:7], v[8:9]
	s_delay_alu instid0(VALU_DEP_4)
	v_fma_f64 v[65:66], v[65:66], -0.5, v[89:90]
	v_add_f64 v[89:90], v[2:3], -v[4:5]
	v_add_f64 v[2:3], v[82:83], v[4:5]
	v_add_f64 v[4:5], v[84:85], v[6:7]
	v_add_f64 v[6:7], v[0:1], -v[6:7]
	v_fma_f64 v[67:68], v[67:68], -0.5, v[91:92]
	s_delay_alu instid0(VALU_DEP_4) | instskip(NEXT) | instid1(VALU_DEP_4)
	v_add_f64 v[0:1], v[2:3], v[10:11]
	v_add_f64 v[2:3], v[4:5], v[8:9]
	v_add_f64 v[4:5], v[12:13], -v[10:11]
	v_add_f64 v[8:9], v[14:15], -v[8:9]
	v_fma_f64 v[10:11], v[71:72], s[14:15], v[65:66]
	v_add_f64 v[0:1], v[0:1], v[12:13]
	v_add_f64 v[2:3], v[2:3], v[14:15]
	v_fma_f64 v[14:15], v[80:81], s[16:17], v[67:68]
	v_fma_f64 v[12:13], v[71:72], s[16:17], v[65:66]
	;; [unrolled: 1-line block ×3, first 2 shown]
	v_add_f64 v[67:68], v[89:90], v[4:5]
	v_add_f64 v[71:72], v[6:7], v[8:9]
	v_fma_f64 v[4:5], v[69:70], s[4:5], v[10:11]
	v_fma_f64 v[6:7], v[73:74], s[10:11], v[14:15]
	;; [unrolled: 1-line block ×4, first 2 shown]
	s_delay_alu instid0(VALU_DEP_4) | instskip(NEXT) | instid1(VALU_DEP_4)
	v_fma_f64 v[4:5], v[67:68], s[18:19], v[4:5]
	v_fma_f64 v[6:7], v[71:72], s[18:19], v[6:7]
	s_delay_alu instid0(VALU_DEP_4) | instskip(NEXT) | instid1(VALU_DEP_4)
	v_fma_f64 v[8:9], v[67:68], s[18:19], v[8:9]
	v_fma_f64 v[10:11], v[71:72], s[18:19], v[10:11]
	ds_store_b128 v88, v[33:36] offset:416
	ds_store_b128 v88, v[16:19] offset:624
	;; [unrolled: 1-line block ×15, first 2 shown]
	s_waitcnt lgkmcnt(0)
	s_barrier
	buffer_gl0_inv
	s_and_saveexec_b32 s0, vcc_lo
	s_cbranch_execz .LBB0_17
; %bb.16:
	scratch_load_b32 v0, off, off offset:100 ; 4-byte Folded Reload
	v_mad_u64_u32 v[4:5], null, s12, v86, 0
	v_mul_lo_u32 v1, s3, v78
	v_mul_lo_u32 v2, s2, v79
	v_mad_u64_u32 v[6:7], null, s2, v78, 0
	v_add_nc_u32_e32 v15, 13, v86
	v_add_nc_u32_e32 v19, 52, v86
	v_add_nc_u32_e32 v20, 0x41, v86
	v_add_nc_u32_e32 v22, 0xb6, v86
	v_add_nc_u32_e32 v26, 0xd0, v86
	v_add_nc_u32_e32 v18, 39, v86
	v_add3_u32 v7, v7, v2, v1
	v_add_nc_u32_e32 v23, 0xc3, v86
	v_add_nc_u32_e32 v29, 0xdd, v86
	;; [unrolled: 1-line block ×3, first 2 shown]
	s_delay_alu instid0(VALU_DEP_4) | instskip(SKIP_4) | instid1(VALU_DEP_2)
	v_lshlrev_b64 v[6:7], 4, v[6:7]
	s_waitcnt vmcnt(0)
	v_lshl_add_u32 v30, v86, 4, v0
	v_mov_b32_e32 v0, v5
	v_mad_u64_u32 v[8:9], null, s12, v15, 0
	v_mad_u64_u32 v[10:11], null, s13, v86, v[0:1]
	v_add_nc_u32_e32 v16, 26, v86
	ds_load_b128 v[0:3], v30
	v_lshlrev_b64 v[11:12], 4, v[76:77]
	v_mov_b32_e32 v5, v10
	v_mad_u64_u32 v[13:14], null, s12, v16, 0
	v_add_co_u32 v10, vcc_lo, s6, v6
	v_add_co_ci_u32_e32 v17, vcc_lo, s7, v7, vcc_lo
	s_delay_alu instid0(VALU_DEP_4) | instskip(NEXT) | instid1(VALU_DEP_3)
	v_lshlrev_b64 v[4:5], 4, v[4:5]
	v_mad_u64_u32 v[6:7], null, s13, v15, v[9:10]
	v_add_co_u32 v31, vcc_lo, v10, v11
	v_mov_b32_e32 v7, v14
	v_add_co_ci_u32_e32 v32, vcc_lo, v17, v12, vcc_lo
	s_delay_alu instid0(VALU_DEP_3) | instskip(NEXT) | instid1(VALU_DEP_3)
	v_add_co_u32 v10, vcc_lo, v31, v4
	v_mad_u64_u32 v[14:15], null, s13, v16, v[7:8]
	s_delay_alu instid0(VALU_DEP_3)
	v_add_co_ci_u32_e32 v11, vcc_lo, v32, v5, vcc_lo
	v_mad_u64_u32 v[15:16], null, s12, v18, 0
	v_mov_b32_e32 v9, v6
	ds_load_b128 v[4:7], v30 offset:208
	s_waitcnt lgkmcnt(1)
	global_store_b128 v[10:11], v[0:3], off
	v_mad_u64_u32 v[11:12], null, s12, v19, 0
	ds_load_b128 v[0:3], v30 offset:416
	v_mov_b32_e32 v10, v16
	v_lshlrev_b64 v[8:9], 4, v[8:9]
	v_lshlrev_b64 v[13:14], 4, v[13:14]
	s_delay_alu instid0(VALU_DEP_3) | instskip(SKIP_1) | instid1(VALU_DEP_4)
	v_mad_u64_u32 v[16:17], null, s13, v18, v[10:11]
	v_mov_b32_e32 v10, v12
	v_add_co_u32 v8, vcc_lo, v31, v8
	v_add_co_ci_u32_e32 v9, vcc_lo, v32, v9, vcc_lo
	s_delay_alu instid0(VALU_DEP_3)
	v_mad_u64_u32 v[17:18], null, s13, v19, v[10:11]
	v_add_co_u32 v12, vcc_lo, v31, v13
	v_add_co_ci_u32_e32 v13, vcc_lo, v32, v14, vcc_lo
	v_mad_u64_u32 v[18:19], null, s12, v20, 0
	s_waitcnt lgkmcnt(1)
	global_store_b128 v[8:9], v[4:7], off
	ds_load_b128 v[4:7], v30 offset:624
	s_waitcnt lgkmcnt(1)
	global_store_b128 v[12:13], v[0:3], off
	v_dual_mov_b32 v12, v17 :: v_dual_add_nc_u32 v21, 0x4e, v86
	v_lshlrev_b64 v[8:9], 4, v[15:16]
	v_mov_b32_e32 v10, v19
	ds_load_b128 v[0:3], v30 offset:832
	v_mad_u64_u32 v[13:14], null, s12, v21, 0
	v_lshlrev_b64 v[11:12], 4, v[11:12]
	v_add_co_u32 v8, vcc_lo, v31, v8
	v_add_co_ci_u32_e32 v9, vcc_lo, v32, v9, vcc_lo
	s_delay_alu instid0(VALU_DEP_3)
	v_mad_u64_u32 v[15:16], null, s13, v20, v[10:11]
	v_mov_b32_e32 v10, v14
	v_add_co_u32 v11, vcc_lo, v31, v11
	v_add_nc_u32_e32 v20, 0x5b, v86
	v_add_co_ci_u32_e32 v12, vcc_lo, v32, v12, vcc_lo
	v_mov_b32_e32 v19, v15
	s_delay_alu instid0(VALU_DEP_4) | instskip(NEXT) | instid1(VALU_DEP_4)
	v_mad_u64_u32 v[14:15], null, s13, v21, v[10:11]
	v_mad_u64_u32 v[15:16], null, s12, v20, 0
	s_waitcnt lgkmcnt(1)
	global_store_b128 v[8:9], v[4:7], off
	v_lshlrev_b64 v[8:9], 4, v[18:19]
	v_add_nc_u32_e32 v19, 0x68, v86
	ds_load_b128 v[4:7], v30 offset:1040
	s_waitcnt lgkmcnt(1)
	global_store_b128 v[11:12], v[0:3], off
	ds_load_b128 v[0:3], v30 offset:1248
	v_mov_b32_e32 v10, v16
	v_mad_u64_u32 v[11:12], null, s12, v19, 0
	v_lshlrev_b64 v[13:14], 4, v[13:14]
	v_add_co_u32 v8, vcc_lo, v31, v8
	v_add_co_ci_u32_e32 v9, vcc_lo, v32, v9, vcc_lo
	v_add_nc_u32_e32 v21, 0x82, v86
	v_mad_u64_u32 v[16:17], null, s13, v20, v[10:11]
	v_mov_b32_e32 v10, v12
	v_add_co_u32 v12, vcc_lo, v31, v13
	v_add_nc_u32_e32 v20, 0x75, v86
	v_add_co_ci_u32_e32 v13, vcc_lo, v32, v14, vcc_lo
	s_delay_alu instid0(VALU_DEP_4) | instskip(NEXT) | instid1(VALU_DEP_3)
	v_mad_u64_u32 v[17:18], null, s13, v19, v[10:11]
	v_mad_u64_u32 v[18:19], null, s12, v20, 0
	s_waitcnt lgkmcnt(1)
	global_store_b128 v[8:9], v[4:7], off
	ds_load_b128 v[4:7], v30 offset:1456
	s_waitcnt lgkmcnt(1)
	global_store_b128 v[12:13], v[0:3], off
	v_lshlrev_b64 v[8:9], 4, v[15:16]
	v_mov_b32_e32 v12, v17
	ds_load_b128 v[0:3], v30 offset:1664
	v_mov_b32_e32 v10, v19
	v_mad_u64_u32 v[13:14], null, s12, v21, 0
	v_lshlrev_b64 v[11:12], 4, v[11:12]
	v_add_co_u32 v8, vcc_lo, v31, v8
	v_add_co_ci_u32_e32 v9, vcc_lo, v32, v9, vcc_lo
	s_delay_alu instid0(VALU_DEP_3)
	v_mad_u64_u32 v[15:16], null, s13, v20, v[10:11]
	v_mov_b32_e32 v10, v14
	v_add_co_u32 v11, vcc_lo, v31, v11
	v_add_nc_u32_e32 v20, 0x8f, v86
	v_add_co_ci_u32_e32 v12, vcc_lo, v32, v12, vcc_lo
	v_mov_b32_e32 v19, v15
	s_delay_alu instid0(VALU_DEP_4) | instskip(NEXT) | instid1(VALU_DEP_4)
	v_mad_u64_u32 v[14:15], null, s13, v21, v[10:11]
	v_mad_u64_u32 v[15:16], null, s12, v20, 0
	s_waitcnt lgkmcnt(1)
	global_store_b128 v[8:9], v[4:7], off
	v_lshlrev_b64 v[8:9], 4, v[18:19]
	v_add_nc_u32_e32 v19, 0x9c, v86
	ds_load_b128 v[4:7], v30 offset:1872
	s_waitcnt lgkmcnt(1)
	global_store_b128 v[11:12], v[0:3], off
	ds_load_b128 v[0:3], v30 offset:2080
	v_mov_b32_e32 v10, v16
	v_mad_u64_u32 v[11:12], null, s12, v19, 0
	v_lshlrev_b64 v[13:14], 4, v[13:14]
	v_add_co_u32 v8, vcc_lo, v31, v8
	v_add_co_ci_u32_e32 v9, vcc_lo, v32, v9, vcc_lo
	s_delay_alu instid0(VALU_DEP_4) | instskip(SKIP_4) | instid1(VALU_DEP_4)
	v_mad_u64_u32 v[16:17], null, s13, v20, v[10:11]
	v_mov_b32_e32 v10, v12
	v_add_co_u32 v12, vcc_lo, v31, v13
	v_add_nc_u32_e32 v20, 0xa9, v86
	v_add_co_ci_u32_e32 v13, vcc_lo, v32, v14, vcc_lo
	v_mad_u64_u32 v[17:18], null, s13, v19, v[10:11]
	s_delay_alu instid0(VALU_DEP_3)
	v_mad_u64_u32 v[18:19], null, s12, v20, 0
	s_waitcnt lgkmcnt(1)
	global_store_b128 v[8:9], v[4:7], off
	ds_load_b128 v[4:7], v30 offset:2288
	s_waitcnt lgkmcnt(1)
	global_store_b128 v[12:13], v[0:3], off
	ds_load_b128 v[0:3], v30 offset:2496
	v_mov_b32_e32 v12, v17
	v_lshlrev_b64 v[8:9], 4, v[15:16]
	v_mov_b32_e32 v10, v19
	v_mad_u64_u32 v[13:14], null, s12, v22, 0
	s_delay_alu instid0(VALU_DEP_4) | instskip(NEXT) | instid1(VALU_DEP_4)
	v_lshlrev_b64 v[11:12], 4, v[11:12]
	v_add_co_u32 v8, vcc_lo, v31, v8
	v_add_co_ci_u32_e32 v9, vcc_lo, v32, v9, vcc_lo
	s_delay_alu instid0(VALU_DEP_3) | instskip(SKIP_3) | instid1(VALU_DEP_4)
	v_mad_u64_u32 v[15:16], null, s13, v20, v[10:11]
	v_mad_u64_u32 v[16:17], null, s12, v23, 0
	v_add_co_u32 v11, vcc_lo, v31, v11
	v_add_co_ci_u32_e32 v12, vcc_lo, v32, v12, vcc_lo
	v_dual_mov_b32 v19, v15 :: v_dual_mov_b32 v10, v14
	s_waitcnt lgkmcnt(1)
	global_store_b128 v[8:9], v[4:7], off
	ds_load_b128 v[4:7], v30 offset:2704
	s_waitcnt lgkmcnt(1)
	global_store_b128 v[11:12], v[0:3], off
	v_lshlrev_b64 v[1:2], 4, v[18:19]
	v_mov_b32_e32 v0, v17
	v_mad_u64_u32 v[20:21], null, s13, v22, v[10:11]
	v_mad_u64_u32 v[18:19], null, s12, v26, 0
	s_delay_alu instid0(VALU_DEP_3) | instskip(SKIP_1) | instid1(VALU_DEP_4)
	v_mad_u64_u32 v[8:9], null, s13, v23, v[0:1]
	v_mad_u64_u32 v[22:23], null, s12, v29, 0
	v_mov_b32_e32 v14, v20
	v_add_co_u32 v20, vcc_lo, v31, v1
	v_add_co_ci_u32_e32 v21, vcc_lo, v32, v2, vcc_lo
	v_mov_b32_e32 v17, v8
	s_delay_alu instid0(VALU_DEP_4)
	v_lshlrev_b64 v[12:13], 4, v[13:14]
	ds_load_b128 v[0:3], v30 offset:2912
	ds_load_b128 v[8:11], v30 offset:3120
	v_mov_b32_e32 v14, v19
	v_lshlrev_b64 v[15:16], 4, v[16:17]
	v_add_co_u32 v12, vcc_lo, v31, v12
	v_add_co_ci_u32_e32 v13, vcc_lo, v32, v13, vcc_lo
	s_delay_alu instid0(VALU_DEP_3) | instskip(SKIP_4) | instid1(VALU_DEP_3)
	v_mad_u64_u32 v[24:25], null, s13, v26, v[14:15]
	v_mov_b32_e32 v14, v23
	v_add_co_u32 v15, vcc_lo, v31, v15
	v_mad_u64_u32 v[25:26], null, s12, v33, 0
	v_add_co_ci_u32_e32 v16, vcc_lo, v32, v16, vcc_lo
	v_mad_u64_u32 v[27:28], null, s13, v29, v[14:15]
	v_add_nc_u32_e32 v14, 0xf7, v86
	s_waitcnt lgkmcnt(2)
	global_store_b128 v[20:21], v[4:7], off
	s_waitcnt lgkmcnt(1)
	global_store_b128 v[12:13], v[0:3], off
	;; [unrolled: 2-line block ×3, first 2 shown]
	v_dual_mov_b32 v2, v26 :: v_dual_mov_b32 v19, v24
	v_add_nc_u32_e32 v28, 0x104, v86
	v_mad_u64_u32 v[16:17], null, s12, v14, 0
	v_mov_b32_e32 v23, v27
	s_delay_alu instid0(VALU_DEP_4) | instskip(SKIP_2) | instid1(VALU_DEP_4)
	v_mad_u64_u32 v[8:9], null, s13, v33, v[2:3]
	v_lshlrev_b64 v[0:1], 4, v[18:19]
	v_mad_u64_u32 v[20:21], null, s12, v28, 0
	v_lshlrev_b64 v[10:11], 4, v[22:23]
	v_mov_b32_e32 v9, v17
	v_add_nc_u32_e32 v29, 0x111, v86
	v_add_co_u32 v18, vcc_lo, v31, v0
	v_add_co_ci_u32_e32 v19, vcc_lo, v32, v1, vcc_lo
	s_delay_alu instid0(VALU_DEP_4)
	v_mad_u64_u32 v[12:13], null, s13, v14, v[9:10]
	v_add_co_u32 v22, vcc_lo, v31, v10
	ds_load_b128 v[0:3], v30 offset:3328
	ds_load_b128 v[4:7], v30 offset:3536
	v_mov_b32_e32 v26, v8
	v_add_co_ci_u32_e32 v23, vcc_lo, v32, v11, vcc_lo
	v_mov_b32_e32 v17, v12
	ds_load_b128 v[8:11], v30 offset:3744
	ds_load_b128 v[12:15], v30 offset:3952
	v_lshlrev_b64 v[24:25], 4, v[25:26]
	v_mad_u64_u32 v[26:27], null, s13, v28, v[21:22]
	v_lshlrev_b64 v[16:17], 4, v[16:17]
	v_mad_u64_u32 v[27:28], null, s12, v29, 0
	s_delay_alu instid0(VALU_DEP_4)
	v_add_co_u32 v24, vcc_lo, v31, v24
	v_add_co_ci_u32_e32 v25, vcc_lo, v32, v25, vcc_lo
	v_mov_b32_e32 v21, v26
	v_add_co_u32 v16, vcc_lo, v31, v16
	v_add_co_ci_u32_e32 v17, vcc_lo, v32, v17, vcc_lo
	s_waitcnt lgkmcnt(3)
	global_store_b128 v[18:19], v[0:3], off
	v_lshlrev_b64 v[1:2], 4, v[20:21]
	s_waitcnt lgkmcnt(2)
	global_store_b128 v[22:23], v[4:7], off
	s_waitcnt lgkmcnt(1)
	global_store_b128 v[24:25], v[8:11], off
	;; [unrolled: 2-line block ×3, first 2 shown]
	v_dual_mov_b32 v0, v28 :: v_dual_add_nc_u32 v5, 0x11e, v86
	v_add_nc_u32_e32 v16, 0x12b, v86
	v_add_nc_u32_e32 v17, 0x138, v86
	v_add_co_u32 v22, vcc_lo, v31, v1
	s_delay_alu instid0(VALU_DEP_4) | instskip(SKIP_3) | instid1(VALU_DEP_4)
	v_mad_u64_u32 v[3:4], null, s13, v29, v[0:1]
	v_mad_u64_u32 v[8:9], null, s12, v5, 0
	;; [unrolled: 1-line block ×4, first 2 shown]
	v_mov_b32_e32 v28, v3
	v_add_co_ci_u32_e32 v23, vcc_lo, v32, v2, vcc_lo
	v_mov_b32_e32 v0, v9
	s_delay_alu instid0(VALU_DEP_3) | instskip(SKIP_1) | instid1(VALU_DEP_3)
	v_lshlrev_b64 v[11:12], 4, v[27:28]
	v_mov_b32_e32 v13, v25
	v_mad_u64_u32 v[9:10], null, s13, v5, v[0:1]
	v_mov_b32_e32 v10, v21
	ds_load_b128 v[0:3], v30 offset:4160
	ds_load_b128 v[4:7], v30 offset:4368
	v_mad_u64_u32 v[14:15], null, s13, v16, v[10:11]
	v_lshlrev_b64 v[28:29], 4, v[8:9]
	s_delay_alu instid0(VALU_DEP_2)
	v_mov_b32_e32 v21, v14
	v_mad_u64_u32 v[25:26], null, s13, v17, v[13:14]
	v_add_co_u32 v26, vcc_lo, v31, v11
	v_add_co_ci_u32_e32 v27, vcc_lo, v32, v12, vcc_lo
	ds_load_b128 v[8:11], v30 offset:4576
	ds_load_b128 v[12:15], v30 offset:4784
	ds_load_b128 v[16:19], v30 offset:4992
	v_lshlrev_b64 v[20:21], 4, v[20:21]
	v_add_co_u32 v28, vcc_lo, v31, v28
	v_lshlrev_b64 v[24:25], 4, v[24:25]
	v_add_co_ci_u32_e32 v29, vcc_lo, v32, v29, vcc_lo
	s_delay_alu instid0(VALU_DEP_4) | instskip(SKIP_1) | instid1(VALU_DEP_4)
	v_add_co_u32 v20, vcc_lo, v31, v20
	v_add_co_ci_u32_e32 v21, vcc_lo, v32, v21, vcc_lo
	v_add_co_u32 v24, vcc_lo, v31, v24
	v_add_co_ci_u32_e32 v25, vcc_lo, v32, v25, vcc_lo
	s_waitcnt lgkmcnt(4)
	global_store_b128 v[22:23], v[0:3], off
	s_waitcnt lgkmcnt(3)
	global_store_b128 v[26:27], v[4:7], off
	;; [unrolled: 2-line block ×5, first 2 shown]
.LBB0_17:
	s_nop 0
	s_sendmsg sendmsg(MSG_DEALLOC_VGPRS)
	s_endpgm
	.section	.rodata,"a",@progbits
	.p2align	6, 0x0
	.amdhsa_kernel fft_rtc_fwd_len325_factors_13_5_5_wgs_52_tpt_13_dp_op_CI_CI_sbrr_dirReg
		.amdhsa_group_segment_fixed_size 0
		.amdhsa_private_segment_fixed_size 108
		.amdhsa_kernarg_size 104
		.amdhsa_user_sgpr_count 15
		.amdhsa_user_sgpr_dispatch_ptr 0
		.amdhsa_user_sgpr_queue_ptr 0
		.amdhsa_user_sgpr_kernarg_segment_ptr 1
		.amdhsa_user_sgpr_dispatch_id 0
		.amdhsa_user_sgpr_private_segment_size 0
		.amdhsa_wavefront_size32 1
		.amdhsa_uses_dynamic_stack 0
		.amdhsa_enable_private_segment 1
		.amdhsa_system_sgpr_workgroup_id_x 1
		.amdhsa_system_sgpr_workgroup_id_y 0
		.amdhsa_system_sgpr_workgroup_id_z 0
		.amdhsa_system_sgpr_workgroup_info 0
		.amdhsa_system_vgpr_workitem_id 0
		.amdhsa_next_free_vgpr 256
		.amdhsa_next_free_sgpr 48
		.amdhsa_reserve_vcc 1
		.amdhsa_float_round_mode_32 0
		.amdhsa_float_round_mode_16_64 0
		.amdhsa_float_denorm_mode_32 3
		.amdhsa_float_denorm_mode_16_64 3
		.amdhsa_dx10_clamp 1
		.amdhsa_ieee_mode 1
		.amdhsa_fp16_overflow 0
		.amdhsa_workgroup_processor_mode 1
		.amdhsa_memory_ordered 1
		.amdhsa_forward_progress 0
		.amdhsa_shared_vgpr_count 0
		.amdhsa_exception_fp_ieee_invalid_op 0
		.amdhsa_exception_fp_denorm_src 0
		.amdhsa_exception_fp_ieee_div_zero 0
		.amdhsa_exception_fp_ieee_overflow 0
		.amdhsa_exception_fp_ieee_underflow 0
		.amdhsa_exception_fp_ieee_inexact 0
		.amdhsa_exception_int_div_zero 0
	.end_amdhsa_kernel
	.text
.Lfunc_end0:
	.size	fft_rtc_fwd_len325_factors_13_5_5_wgs_52_tpt_13_dp_op_CI_CI_sbrr_dirReg, .Lfunc_end0-fft_rtc_fwd_len325_factors_13_5_5_wgs_52_tpt_13_dp_op_CI_CI_sbrr_dirReg
                                        ; -- End function
	.section	.AMDGPU.csdata,"",@progbits
; Kernel info:
; codeLenInByte = 21260
; NumSgprs: 50
; NumVgprs: 256
; ScratchSize: 108
; MemoryBound: 0
; FloatMode: 240
; IeeeMode: 1
; LDSByteSize: 0 bytes/workgroup (compile time only)
; SGPRBlocks: 6
; VGPRBlocks: 31
; NumSGPRsForWavesPerEU: 50
; NumVGPRsForWavesPerEU: 256
; Occupancy: 5
; WaveLimiterHint : 1
; COMPUTE_PGM_RSRC2:SCRATCH_EN: 1
; COMPUTE_PGM_RSRC2:USER_SGPR: 15
; COMPUTE_PGM_RSRC2:TRAP_HANDLER: 0
; COMPUTE_PGM_RSRC2:TGID_X_EN: 1
; COMPUTE_PGM_RSRC2:TGID_Y_EN: 0
; COMPUTE_PGM_RSRC2:TGID_Z_EN: 0
; COMPUTE_PGM_RSRC2:TIDIG_COMP_CNT: 0
	.text
	.p2alignl 7, 3214868480
	.fill 96, 4, 3214868480
	.type	__hip_cuid_a5111e8ab7d6f35f,@object ; @__hip_cuid_a5111e8ab7d6f35f
	.section	.bss,"aw",@nobits
	.globl	__hip_cuid_a5111e8ab7d6f35f
__hip_cuid_a5111e8ab7d6f35f:
	.byte	0                               ; 0x0
	.size	__hip_cuid_a5111e8ab7d6f35f, 1

	.ident	"AMD clang version 19.0.0git (https://github.com/RadeonOpenCompute/llvm-project roc-6.4.0 25133 c7fe45cf4b819c5991fe208aaa96edf142730f1d)"
	.section	".note.GNU-stack","",@progbits
	.addrsig
	.addrsig_sym __hip_cuid_a5111e8ab7d6f35f
	.amdgpu_metadata
---
amdhsa.kernels:
  - .args:
      - .actual_access:  read_only
        .address_space:  global
        .offset:         0
        .size:           8
        .value_kind:     global_buffer
      - .offset:         8
        .size:           8
        .value_kind:     by_value
      - .actual_access:  read_only
        .address_space:  global
        .offset:         16
        .size:           8
        .value_kind:     global_buffer
      - .actual_access:  read_only
        .address_space:  global
        .offset:         24
        .size:           8
        .value_kind:     global_buffer
      - .actual_access:  read_only
        .address_space:  global
        .offset:         32
        .size:           8
        .value_kind:     global_buffer
      - .offset:         40
        .size:           8
        .value_kind:     by_value
      - .actual_access:  read_only
        .address_space:  global
        .offset:         48
        .size:           8
        .value_kind:     global_buffer
      - .actual_access:  read_only
        .address_space:  global
        .offset:         56
        .size:           8
        .value_kind:     global_buffer
      - .offset:         64
        .size:           4
        .value_kind:     by_value
      - .actual_access:  read_only
        .address_space:  global
        .offset:         72
        .size:           8
        .value_kind:     global_buffer
      - .actual_access:  read_only
        .address_space:  global
        .offset:         80
        .size:           8
        .value_kind:     global_buffer
      - .actual_access:  read_only
        .address_space:  global
        .offset:         88
        .size:           8
        .value_kind:     global_buffer
      - .actual_access:  write_only
        .address_space:  global
        .offset:         96
        .size:           8
        .value_kind:     global_buffer
    .group_segment_fixed_size: 0
    .kernarg_segment_align: 8
    .kernarg_segment_size: 104
    .language:       OpenCL C
    .language_version:
      - 2
      - 0
    .max_flat_workgroup_size: 52
    .name:           fft_rtc_fwd_len325_factors_13_5_5_wgs_52_tpt_13_dp_op_CI_CI_sbrr_dirReg
    .private_segment_fixed_size: 108
    .sgpr_count:     50
    .sgpr_spill_count: 0
    .symbol:         fft_rtc_fwd_len325_factors_13_5_5_wgs_52_tpt_13_dp_op_CI_CI_sbrr_dirReg.kd
    .uniform_work_group_size: 1
    .uses_dynamic_stack: false
    .vgpr_count:     256
    .vgpr_spill_count: 28
    .wavefront_size: 32
    .workgroup_processor_mode: 1
amdhsa.target:   amdgcn-amd-amdhsa--gfx1100
amdhsa.version:
  - 1
  - 2
...

	.end_amdgpu_metadata
